;; amdgpu-corpus repo=ROCm/rocFFT kind=compiled arch=gfx1030 opt=O3
	.text
	.amdgcn_target "amdgcn-amd-amdhsa--gfx1030"
	.amdhsa_code_object_version 6
	.protected	bluestein_single_back_len850_dim1_dp_op_CI_CI ; -- Begin function bluestein_single_back_len850_dim1_dp_op_CI_CI
	.globl	bluestein_single_back_len850_dim1_dp_op_CI_CI
	.p2align	8
	.type	bluestein_single_back_len850_dim1_dp_op_CI_CI,@function
bluestein_single_back_len850_dim1_dp_op_CI_CI: ; @bluestein_single_back_len850_dim1_dp_op_CI_CI
; %bb.0:
	s_load_dwordx4 s[12:15], s[4:5], 0x28
	v_mul_u32_u24_e32 v1, 0x304, v0
	s_mov_b64 s[58:59], s[2:3]
	s_mov_b64 s[56:57], s[0:1]
	v_mov_b32_e32 v242, 0
	s_add_u32 s56, s56, s7
	v_lshrrev_b32_e32 v1, 16, v1
	s_addc_u32 s57, s57, 0
	s_mov_b32 s0, exec_lo
	v_add_nc_u32_e32 v241, s6, v1
	s_waitcnt lgkmcnt(0)
	v_cmpx_gt_u64_e64 s[12:13], v[241:242]
	s_cbranch_execz .LBB0_10
; %bb.1:
	s_clause 0x1
	s_load_dwordx4 s[8:11], s[4:5], 0x18
	s_load_dwordx4 s[0:3], s[4:5], 0x0
	v_mul_lo_u16 v1, 0x55, v1
	s_mov_b32 s12, 0x372fe950
	s_mov_b32 s13, 0x3fd3c6ef
	s_load_dwordx2 s[4:5], s[4:5], 0x38
                                        ; implicit-def: $vgpr168_vgpr169
                                        ; implicit-def: $vgpr180_vgpr181
                                        ; implicit-def: $vgpr184_vgpr185
                                        ; implicit-def: $vgpr192_vgpr193
                                        ; implicit-def: $vgpr196_vgpr197
                                        ; implicit-def: $vgpr200_vgpr201
	v_sub_nc_u16 v0, v0, v1
	v_and_b32_e32 v242, 0xffff, v0
	v_lshlrev_b32_e32 v255, 4, v242
	s_waitcnt lgkmcnt(0)
	s_load_dwordx4 s[16:19], s[8:9], 0x0
	s_clause 0x1
	global_load_dwordx4 v[81:84], v255, s[0:1]
	global_load_dwordx4 v[85:88], v255, s[0:1] offset:1360
	v_add_co_u32 v204, s6, s0, v255
	v_add_co_ci_u32_e64 v205, null, s1, 0, s6
	v_add_co_u32 v5, vcc_lo, 0x800, v204
	v_add_co_ci_u32_e32 v6, vcc_lo, 0, v205, vcc_lo
	v_add_co_u32 v7, vcc_lo, 0x1000, v204
	v_add_co_ci_u32_e32 v8, vcc_lo, 0, v205, vcc_lo
	s_clause 0x2
	global_load_dwordx4 v[109:112], v[5:6], off offset:672
	global_load_dwordx4 v[101:104], v[5:6], off offset:2032
	;; [unrolled: 1-line block ×3, first 2 shown]
	s_waitcnt lgkmcnt(0)
	v_mad_u64_u32 v[1:2], null, s18, v241, 0
	v_mad_u64_u32 v[3:4], null, s16, v242, 0
	s_mul_i32 s0, s17, 0x550
	s_mul_hi_u32 s1, s16, 0x550
	s_mul_i32 s6, s16, 0x550
	s_add_i32 s1, s1, s0
	v_mad_u64_u32 v[9:10], null, s19, v241, v[2:3]
	v_mad_u64_u32 v[12:13], null, s17, v242, v[4:5]
	v_add_co_u32 v10, vcc_lo, 0x1800, v204
	v_add_co_ci_u32_e32 v11, vcc_lo, 0, v205, vcc_lo
	v_mov_b32_e32 v2, v9
	v_add_co_u32 v13, vcc_lo, 0x2000, v204
	v_mov_b32_e32 v4, v12
	v_add_co_ci_u32_e32 v14, vcc_lo, 0, v205, vcc_lo
	v_lshlrev_b64 v[1:2], 4, v[1:2]
	v_add_co_u32 v37, vcc_lo, 0x2800, v204
	v_add_co_ci_u32_e32 v38, vcc_lo, 0, v205, vcc_lo
	v_lshlrev_b64 v[3:4], 4, v[3:4]
	v_add_co_u32 v1, vcc_lo, s14, v1
	v_add_co_ci_u32_e32 v2, vcc_lo, s15, v2, vcc_lo
	s_clause 0x1
	global_load_dwordx4 v[97:100], v[10:11], off offset:656
	global_load_dwordx4 v[89:92], v[10:11], off offset:2016
	v_add_co_u32 v1, vcc_lo, v1, v3
	v_add_co_ci_u32_e32 v2, vcc_lo, v2, v4, vcc_lo
	global_load_dwordx4 v[93:96], v[13:14], off offset:1328
	v_add_co_u32 v5, vcc_lo, v1, s6
	v_add_co_ci_u32_e32 v6, vcc_lo, s1, v2, vcc_lo
	s_mov_b32 s17, 0xbfee6f0e
	v_add_co_u32 v15, vcc_lo, v5, s6
	v_add_co_ci_u32_e32 v16, vcc_lo, s1, v6, vcc_lo
	s_clause 0x1
	global_load_dwordx4 v[1:4], v[1:2], off
	global_load_dwordx4 v[5:8], v[5:6], off
	v_add_co_u32 v17, vcc_lo, v15, s6
	v_add_co_ci_u32_e32 v18, vcc_lo, s1, v16, vcc_lo
	global_load_dwordx4 v[9:12], v[15:16], off
	v_add_co_u32 v19, vcc_lo, v17, s6
	v_add_co_ci_u32_e32 v20, vcc_lo, s1, v18, vcc_lo
	s_mov_b32 s15, 0xbfe2cf23
	v_add_co_u32 v21, vcc_lo, v19, s6
	v_add_co_ci_u32_e32 v22, vcc_lo, s1, v20, vcc_lo
	s_clause 0x1
	global_load_dwordx4 v[13:16], v[17:18], off
	global_load_dwordx4 v[17:20], v[19:20], off
	v_add_co_u32 v25, vcc_lo, v21, s6
	v_add_co_ci_u32_e32 v26, vcc_lo, s1, v22, vcc_lo
	global_load_dwordx4 v[21:24], v[21:22], off
	v_add_co_u32 v29, vcc_lo, v25, s6
	v_add_co_ci_u32_e32 v30, vcc_lo, s1, v26, vcc_lo
	;; [unrolled: 3-line block ×3, first 2 shown]
	s_mov_b32 s18, 0x9b97f4a8
	v_add_co_u32 v39, vcc_lo, v33, s6
	v_add_co_ci_u32_e32 v40, vcc_lo, s1, v34, vcc_lo
	global_load_dwordx4 v[29:32], v[29:30], off
	global_load_dwordx4 v[33:36], v[33:34], off
	s_clause 0x1
	global_load_dwordx4 v[113:116], v[37:38], off offset:640
	global_load_dwordx4 v[117:120], v[37:38], off offset:2000
	global_load_dwordx4 v[37:40], v[39:40], off
	s_mov_b32 s0, 0x134454ff
	s_mov_b32 s1, 0x3fee6f0e
	;; [unrolled: 1-line block ×7, first 2 shown]
	v_cmp_gt_u16_e32 vcc_lo, 50, v0
	s_waitcnt vmcnt(11)
	v_mul_f64 v[41:42], v[3:4], v[83:84]
	s_waitcnt vmcnt(10)
	v_mul_f64 v[45:46], v[7:8], v[87:88]
	v_mul_f64 v[43:44], v[1:2], v[83:84]
	;; [unrolled: 1-line block ×3, first 2 shown]
	s_waitcnt vmcnt(9)
	v_mul_f64 v[49:50], v[11:12], v[111:112]
	v_mul_f64 v[51:52], v[9:10], v[111:112]
	s_waitcnt vmcnt(8)
	v_mul_f64 v[53:54], v[15:16], v[103:104]
	s_waitcnt vmcnt(7)
	v_mul_f64 v[57:58], v[19:20], v[107:108]
	v_mul_f64 v[55:56], v[13:14], v[103:104]
	;; [unrolled: 1-line block ×3, first 2 shown]
	s_waitcnt vmcnt(6)
	v_mul_f64 v[61:62], v[23:24], v[99:100]
	v_fma_f64 v[1:2], v[1:2], v[81:82], v[41:42]
	buffer_store_dword v81, off, s[56:59], 0 offset:112 ; 4-byte Folded Spill
	buffer_store_dword v82, off, s[56:59], 0 offset:116 ; 4-byte Folded Spill
	;; [unrolled: 1-line block ×4, first 2 shown]
	v_fma_f64 v[5:6], v[5:6], v[85:86], v[45:46]
	buffer_store_dword v85, off, s[56:59], 0 offset:128 ; 4-byte Folded Spill
	buffer_store_dword v86, off, s[56:59], 0 offset:132 ; 4-byte Folded Spill
	;; [unrolled: 1-line block ×4, first 2 shown]
	s_waitcnt vmcnt(5)
	v_mul_f64 v[65:66], v[27:28], v[91:92]
	v_mul_f64 v[63:64], v[21:22], v[99:100]
	v_fma_f64 v[9:10], v[9:10], v[109:110], v[49:50]
	buffer_store_dword v109, off, s[56:59], 0 offset:224 ; 4-byte Folded Spill
	buffer_store_dword v110, off, s[56:59], 0 offset:228 ; 4-byte Folded Spill
	;; [unrolled: 1-line block ×4, first 2 shown]
	v_mul_f64 v[67:68], v[25:26], v[91:92]
	s_waitcnt vmcnt(4)
	v_mul_f64 v[69:70], v[31:32], v[95:96]
	v_mul_f64 v[71:72], v[29:30], v[95:96]
	s_waitcnt vmcnt(2)
	v_mul_f64 v[73:74], v[35:36], v[115:116]
	;; [unrolled: 3-line block ×3, first 2 shown]
	v_fma_f64 v[13:14], v[13:14], v[101:102], v[53:54]
	buffer_store_dword v101, off, s[56:59], 0 offset:192 ; 4-byte Folded Spill
	buffer_store_dword v102, off, s[56:59], 0 offset:196 ; 4-byte Folded Spill
	;; [unrolled: 1-line block ×4, first 2 shown]
	v_fma_f64 v[17:18], v[17:18], v[105:106], v[57:58]
	buffer_store_dword v105, off, s[56:59], 0 offset:208 ; 4-byte Folded Spill
	buffer_store_dword v106, off, s[56:59], 0 offset:212 ; 4-byte Folded Spill
	;; [unrolled: 1-line block ×4, first 2 shown]
	v_mul_f64 v[79:80], v[37:38], v[119:120]
	v_fma_f64 v[21:22], v[21:22], v[97:98], v[61:62]
	buffer_store_dword v97, off, s[56:59], 0 offset:176 ; 4-byte Folded Spill
	buffer_store_dword v98, off, s[56:59], 0 offset:180 ; 4-byte Folded Spill
	buffer_store_dword v99, off, s[56:59], 0 offset:184 ; 4-byte Folded Spill
	buffer_store_dword v100, off, s[56:59], 0 offset:188 ; 4-byte Folded Spill
	v_fma_f64 v[25:26], v[25:26], v[89:90], v[65:66]
	buffer_store_dword v89, off, s[56:59], 0 offset:144 ; 4-byte Folded Spill
	buffer_store_dword v90, off, s[56:59], 0 offset:148 ; 4-byte Folded Spill
	buffer_store_dword v91, off, s[56:59], 0 offset:152 ; 4-byte Folded Spill
	buffer_store_dword v92, off, s[56:59], 0 offset:156 ; 4-byte Folded Spill
	v_fma_f64 v[29:30], v[29:30], v[93:94], v[69:70]
	buffer_store_dword v93, off, s[56:59], 0 offset:160 ; 4-byte Folded Spill
	buffer_store_dword v94, off, s[56:59], 0 offset:164 ; 4-byte Folded Spill
	buffer_store_dword v95, off, s[56:59], 0 offset:168 ; 4-byte Folded Spill
	buffer_store_dword v96, off, s[56:59], 0 offset:172 ; 4-byte Folded Spill
	v_fma_f64 v[33:34], v[33:34], v[113:114], v[73:74]
	buffer_store_dword v113, off, s[56:59], 0 offset:240 ; 4-byte Folded Spill
	buffer_store_dword v114, off, s[56:59], 0 offset:244 ; 4-byte Folded Spill
	buffer_store_dword v115, off, s[56:59], 0 offset:248 ; 4-byte Folded Spill
	buffer_store_dword v116, off, s[56:59], 0 offset:252 ; 4-byte Folded Spill
	v_fma_f64 v[37:38], v[37:38], v[117:118], v[77:78]
	buffer_store_dword v117, off, s[56:59], 0 offset:256 ; 4-byte Folded Spill
	buffer_store_dword v118, off, s[56:59], 0 offset:260 ; 4-byte Folded Spill
	buffer_store_dword v119, off, s[56:59], 0 offset:264 ; 4-byte Folded Spill
	buffer_store_dword v120, off, s[56:59], 0 offset:268 ; 4-byte Folded Spill
	s_load_dwordx4 s[8:11], s[10:11], 0x0
	v_fma_f64 v[3:4], v[3:4], v[81:82], -v[43:44]
	v_fma_f64 v[7:8], v[7:8], v[85:86], -v[47:48]
	;; [unrolled: 1-line block ×3, first 2 shown]
	v_add_nc_u16 v110, v0, 0x55
	v_and_b32_e32 v111, 0xff, v110
	v_fma_f64 v[15:16], v[15:16], v[101:102], -v[55:56]
	v_fma_f64 v[19:20], v[19:20], v[105:106], -v[59:60]
	;; [unrolled: 1-line block ×7, first 2 shown]
	ds_write_b128 v255, v[1:4]
	ds_write_b128 v255, v[5:8] offset:1360
	ds_write_b128 v255, v[9:12] offset:2720
	;; [unrolled: 1-line block ×9, first 2 shown]
	s_waitcnt lgkmcnt(0)
	s_waitcnt_vscnt null, 0x0
	s_barrier
	buffer_gl0_inv
	ds_read_b128 v[48:51], v255 offset:6800
	ds_read_b128 v[44:47], v255 offset:9520
	;; [unrolled: 1-line block ×6, first 2 shown]
	ds_read_b128 v[68:71], v255
	ds_read_b128 v[60:63], v255 offset:8160
	ds_read_b128 v[56:59], v255 offset:10880
	;; [unrolled: 1-line block ×3, first 2 shown]
	v_and_b32_e32 v13, 0xff, v0
	s_waitcnt lgkmcnt(0)
	s_barrier
	buffer_gl0_inv
	v_mul_lo_u16 v39, 0xcd, v13
	v_add_f64 v[5:6], v[48:49], v[44:45]
	v_add_f64 v[11:12], v[50:51], v[46:47]
	;; [unrolled: 1-line block ×4, first 2 shown]
	v_add_f64 v[23:24], v[54:55], -v[42:43]
	v_add_f64 v[25:26], v[50:51], -v[46:47]
	;; [unrolled: 1-line block ×4, first 2 shown]
	v_add_f64 v[13:14], v[68:69], v[72:73]
	v_add_f64 v[15:16], v[64:65], v[60:61]
	v_add_f64 v[19:20], v[72:73], -v[64:65]
	v_add_f64 v[21:22], v[72:73], v[56:57]
	v_add_f64 v[29:30], v[64:65], -v[72:73]
	;; [unrolled: 2-line block ×4, first 2 shown]
	v_add_f64 v[78:79], v[40:41], -v[44:45]
	v_add_f64 v[80:81], v[48:49], -v[52:53]
	;; [unrolled: 1-line block ×5, first 2 shown]
	v_fma_f64 v[5:6], v[5:6], -0.5, v[1:2]
	v_fma_f64 v[11:12], v[11:12], -0.5, v[3:4]
	;; [unrolled: 1-line block ×4, first 2 shown]
	v_add_f64 v[1:2], v[1:2], v[52:53]
	v_add_f64 v[52:53], v[54:55], -v[50:51]
	v_add_f64 v[3:4], v[3:4], v[54:55]
	v_add_f64 v[86:87], v[42:43], -v[46:47]
	;; [unrolled: 2-line block ×3, first 2 shown]
	v_add_f64 v[17:18], v[74:75], -v[58:59]
	v_add_f64 v[102:103], v[66:67], -v[62:63]
	;; [unrolled: 1-line block ×3, first 2 shown]
	v_fma_f64 v[15:16], v[15:16], -0.5, v[68:69]
	v_fma_f64 v[21:22], v[21:22], -0.5, v[68:69]
	;; [unrolled: 1-line block ×4, first 2 shown]
	v_add_f64 v[70:71], v[76:77], v[78:79]
	v_add_f64 v[13:14], v[13:14], v[64:65]
	v_add_f64 v[72:73], v[80:81], v[82:83]
	v_add_f64 v[84:85], v[74:75], -v[66:67]
	v_add_f64 v[76:77], v[88:89], v[90:91]
	v_fma_f64 v[54:55], v[23:24], s[0:1], v[5:6]
	v_fma_f64 v[5:6], v[23:24], s[16:17], v[5:6]
	;; [unrolled: 1-line block ×8, first 2 shown]
	v_add_f64 v[52:53], v[52:53], v[86:87]
	v_add_f64 v[1:2], v[1:2], v[48:49]
	v_add_f64 v[3:4], v[3:4], v[50:51]
	v_add_f64 v[74:75], v[66:67], -v[74:75]
	v_add_f64 v[96:97], v[56:57], -v[60:61]
	;; [unrolled: 1-line block ×4, first 2 shown]
	v_fma_f64 v[48:49], v[37:38], s[16:17], v[33:34]
	v_fma_f64 v[33:34], v[37:38], s[0:1], v[33:34]
	;; [unrolled: 1-line block ×4, first 2 shown]
	v_add_f64 v[13:14], v[13:14], v[60:61]
	v_fma_f64 v[54:55], v[25:26], s[6:7], v[54:55]
	v_fma_f64 v[5:6], v[25:26], s[14:15], v[5:6]
	;; [unrolled: 1-line block ×7, first 2 shown]
	v_add_f64 v[25:26], v[29:30], v[100:101]
	v_add_f64 v[29:30], v[31:32], v[66:67]
	v_fma_f64 v[31:32], v[17:18], s[0:1], v[15:16]
	v_fma_f64 v[35:36], v[102:103], s[16:17], v[21:22]
	;; [unrolled: 1-line block ×5, first 2 shown]
	v_add_f64 v[44:45], v[1:2], v[44:45]
	v_add_f64 v[2:3], v[3:4], v[46:47]
	;; [unrolled: 1-line block ×4, first 2 shown]
	v_fma_f64 v[33:34], v[104:105], s[6:7], v[33:34]
	v_fma_f64 v[46:47], v[37:38], s[14:15], v[50:51]
	;; [unrolled: 1-line block ×3, first 2 shown]
	v_lshrrev_b16 v1, 11, v39
	v_fma_f64 v[27:28], v[70:71], s[12:13], v[54:55]
	v_fma_f64 v[5:6], v[70:71], s[12:13], v[5:6]
	;; [unrolled: 1-line block ×7, first 2 shown]
	v_add_f64 v[70:71], v[74:75], v[108:109]
	v_add_f64 v[29:30], v[29:30], v[62:63]
	v_fma_f64 v[31:32], v[102:103], s[6:7], v[31:32]
	v_fma_f64 v[35:36], v[17:18], s[6:7], v[35:36]
	;; [unrolled: 1-line block ×6, first 2 shown]
	v_add_f64 v[13:14], v[13:14], v[56:57]
	v_add_f64 v[39:40], v[44:45], v[40:41]
	;; [unrolled: 1-line block ×3, first 2 shown]
	v_mul_lo_u16 v4, 0xcd, v111
	v_mul_lo_u16 v2, v1, 10
	v_mul_f64 v[48:49], v[27:28], s[18:19]
	v_mul_f64 v[27:28], v[27:28], s[14:15]
	;; [unrolled: 1-line block ×8, first 2 shown]
	v_add_f64 v[29:30], v[29:30], v[58:59]
	v_fma_f64 v[31:32], v[19:20], s[12:13], v[31:32]
	v_fma_f64 v[45:46], v[70:71], s[12:13], v[46:47]
	;; [unrolled: 1-line block ×8, first 2 shown]
	v_lshrrev_b16 v156, 11, v4
	v_fma_f64 v[33:34], v[11:12], s[6:7], v[48:49]
	v_fma_f64 v[37:38], v[9:10], s[12:13], v[50:51]
	v_fma_f64 v[47:48], v[7:8], s[0:1], -v[52:53]
	v_fma_f64 v[51:52], v[11:12], s[18:19], v[27:28]
	v_fma_f64 v[53:54], v[54:55], s[12:13], v[62:63]
	v_fma_f64 v[49:50], v[23:24], s[6:7], -v[60:61]
	v_fma_f64 v[60:61], v[66:67], s[16:17], -v[64:65]
	;; [unrolled: 1-line block ×3, first 2 shown]
	v_sub_nc_u16 v55, v0, v2
	v_add_f64 v[2:3], v[13:14], v[39:40]
	v_add_f64 v[4:5], v[29:30], v[41:42]
	v_add_f64 v[6:7], v[13:14], -v[39:40]
	v_add_f64 v[8:9], v[29:30], -v[41:42]
	v_mul_lo_u16 v64, v156, 10
	v_mov_b32_e32 v42, 4
	v_and_b32_e32 v157, 0xff, v55
	v_add_f64 v[10:11], v[31:32], v[33:34]
	v_add_f64 v[26:27], v[31:32], -v[33:34]
	v_add_f64 v[14:15], v[35:36], v[37:38]
	v_add_f64 v[18:19], v[56:57], v[47:48]
	;; [unrolled: 1-line block ×7, first 2 shown]
	v_add_f64 v[28:29], v[58:59], -v[51:52]
	v_add_f64 v[30:31], v[35:36], -v[37:38]
	;; [unrolled: 1-line block ×7, first 2 shown]
	v_mul_lo_u16 v43, v0, 10
	v_sub_nc_u16 v44, v110, v64
	v_lshlrev_b32_sdwa v212, v42, v43 dst_sel:DWORD dst_unused:UNUSED_PAD src0_sel:DWORD src1_sel:WORD_0
	v_and_b32_e32 v158, 0xff, v44
	v_lshlrev_b32_e32 v42, 6, v157
	ds_write_b128 v212, v[2:5]
	ds_write_b128 v212, v[6:9] offset:80
	ds_write_b128 v212, v[10:13] offset:16
	;; [unrolled: 1-line block ×9, first 2 shown]
	v_lshlrev_b32_e32 v2, 6, v158
	s_waitcnt lgkmcnt(0)
	s_barrier
	buffer_gl0_inv
	s_clause 0x7
	global_load_dwordx4 v[132:135], v42, s[2:3]
	global_load_dwordx4 v[128:131], v42, s[2:3] offset:16
	global_load_dwordx4 v[124:127], v42, s[2:3] offset:32
	;; [unrolled: 1-line block ×3, first 2 shown]
	global_load_dwordx4 v[116:119], v2, s[2:3]
	global_load_dwordx4 v[112:115], v2, s[2:3] offset:16
	global_load_dwordx4 v[108:111], v2, s[2:3] offset:32
	;; [unrolled: 1-line block ×3, first 2 shown]
	ds_read_b128 v[2:5], v255 offset:2720
	ds_read_b128 v[6:9], v255 offset:5440
	;; [unrolled: 1-line block ×8, first 2 shown]
	s_waitcnt vmcnt(5) lgkmcnt(5)
	v_mul_f64 v[42:43], v[12:13], v[126:127]
	s_waitcnt vmcnt(4) lgkmcnt(4)
	v_mul_f64 v[44:45], v[16:17], v[122:123]
	v_mul_f64 v[46:47], v[10:11], v[126:127]
	;; [unrolled: 1-line block ×7, first 2 shown]
	s_waitcnt vmcnt(3) lgkmcnt(3)
	v_mul_f64 v[50:51], v[20:21], v[118:119]
	v_mul_f64 v[52:53], v[18:19], v[118:119]
	s_waitcnt vmcnt(2) lgkmcnt(2)
	v_mul_f64 v[54:55], v[24:25], v[114:115]
	v_mul_f64 v[56:57], v[22:23], v[114:115]
	s_waitcnt vmcnt(1) lgkmcnt(1)
	v_mul_f64 v[58:59], v[28:29], v[110:111]
	s_waitcnt vmcnt(0) lgkmcnt(0)
	v_mul_f64 v[60:61], v[32:33], v[106:107]
	v_mul_f64 v[62:63], v[26:27], v[110:111]
	;; [unrolled: 1-line block ×3, first 2 shown]
	v_fma_f64 v[10:11], v[10:11], v[124:125], -v[42:43]
	v_fma_f64 v[14:15], v[14:15], v[120:121], -v[44:45]
	v_fma_f64 v[12:13], v[12:13], v[124:125], v[46:47]
	v_fma_f64 v[34:35], v[2:3], v[132:133], -v[34:35]
	v_fma_f64 v[36:37], v[4:5], v[132:133], v[36:37]
	;; [unrolled: 2-line block ×3, first 2 shown]
	v_fma_f64 v[16:17], v[16:17], v[120:121], v[48:49]
	v_fma_f64 v[18:19], v[18:19], v[116:117], -v[50:51]
	v_fma_f64 v[20:21], v[20:21], v[116:117], v[52:53]
	v_fma_f64 v[22:23], v[22:23], v[112:113], -v[54:55]
	;; [unrolled: 2-line block ×3, first 2 shown]
	v_fma_f64 v[30:31], v[30:31], v[104:105], -v[60:61]
	v_fma_f64 v[28:29], v[28:29], v[108:109], v[62:63]
	v_fma_f64 v[32:33], v[32:33], v[104:105], v[64:65]
	ds_read_b128 v[2:5], v255
	ds_read_b128 v[6:9], v255 offset:1360
	s_waitcnt lgkmcnt(0)
	s_barrier
	buffer_gl0_inv
	v_add_f64 v[72:73], v[14:15], -v[10:11]
	v_add_f64 v[74:75], v[10:11], -v[14:15]
	v_add_f64 v[44:45], v[34:35], v[14:15]
	v_add_f64 v[42:43], v[38:39], v[10:11]
	;; [unrolled: 1-line block ×4, first 2 shown]
	v_add_f64 v[66:67], v[34:35], -v[38:39]
	v_add_f64 v[68:69], v[38:39], -v[34:35]
	;; [unrolled: 1-line block ×4, first 2 shown]
	v_add_f64 v[54:55], v[22:23], v[26:27]
	v_add_f64 v[56:57], v[18:19], v[30:31]
	;; [unrolled: 1-line block ×8, first 2 shown]
	v_add_f64 v[34:35], v[34:35], -v[14:15]
	v_add_f64 v[78:79], v[36:37], -v[40:41]
	;; [unrolled: 1-line block ×8, first 2 shown]
	v_fma_f64 v[42:43], v[42:43], -0.5, v[2:3]
	v_fma_f64 v[46:47], v[46:47], -0.5, v[4:5]
	;; [unrolled: 1-line block ×3, first 2 shown]
	v_add_f64 v[18:19], v[18:19], -v[30:31]
	v_fma_f64 v[4:5], v[48:49], -0.5, v[4:5]
	v_add_f64 v[44:45], v[22:23], -v[26:27]
	v_fma_f64 v[48:49], v[54:55], -0.5, v[6:7]
	v_fma_f64 v[6:7], v[56:57], -0.5, v[6:7]
	v_fma_f64 v[54:55], v[58:59], -0.5, v[8:9]
	v_fma_f64 v[8:9], v[60:61], -0.5, v[8:9]
	v_add_f64 v[36:37], v[40:41], -v[36:37]
	v_add_f64 v[84:85], v[12:13], -v[16:17]
	;; [unrolled: 1-line block ×8, first 2 shown]
	v_add_f64 v[38:39], v[50:51], v[38:39]
	v_add_f64 v[40:41], v[52:53], v[40:41]
	;; [unrolled: 1-line block ×7, first 2 shown]
	v_fma_f64 v[62:63], v[76:77], s[0:1], v[42:43]
	v_fma_f64 v[64:65], v[34:35], s[16:17], v[46:47]
	;; [unrolled: 1-line block ×16, first 2 shown]
	v_add_f64 v[36:37], v[36:37], v[84:85]
	v_add_f64 v[58:59], v[92:93], v[96:97]
	;; [unrolled: 1-line block ×9, first 2 shown]
	v_fma_f64 v[26:27], v[80:81], s[6:7], v[62:63]
	v_fma_f64 v[28:29], v[70:71], s[14:15], v[64:65]
	;; [unrolled: 1-line block ×16, first 2 shown]
	v_mov_b32_e32 v44, 50
	v_add_f64 v[164:165], v[10:11], v[14:15]
	v_add_f64 v[166:167], v[12:13], v[16:17]
	;; [unrolled: 1-line block ×4, first 2 shown]
	v_fma_f64 v[188:189], v[50:51], s[12:13], v[26:27]
	v_fma_f64 v[190:191], v[56:57], s[12:13], v[28:29]
	;; [unrolled: 1-line block ×16, first 2 shown]
	v_mul_u32_u24_sdwa v1, v1, v44 dst_sel:DWORD dst_unused:UNUSED_PAD src0_sel:WORD_0 src1_sel:DWORD
	v_mul_u32_u24_sdwa v2, v156, v44 dst_sel:DWORD dst_unused:UNUSED_PAD src0_sel:WORD_0 src1_sel:DWORD
	v_add_lshl_u32 v244, v1, v157, 4
	v_add_lshl_u32 v243, v2, v158, 4
	ds_write_b128 v244, v[164:167]
	ds_write_b128 v244, v[188:191] offset:160
	ds_write_b128 v244, v[176:179] offset:320
	;; [unrolled: 1-line block ×4, first 2 shown]
	ds_write_b128 v243, v[152:155]
	ds_write_b128 v243, v[148:151] offset:160
	ds_write_b128 v243, v[144:147] offset:320
	;; [unrolled: 1-line block ×4, first 2 shown]
	s_waitcnt lgkmcnt(0)
	s_barrier
	buffer_gl0_inv
                                        ; implicit-def: $vgpr156_vgpr157
	s_and_saveexec_b32 s0, vcc_lo
	s_cbranch_execz .LBB0_3
; %bb.2:
	ds_read_b128 v[164:167], v255
	ds_read_b128 v[188:191], v255 offset:800
	ds_read_b128 v[176:179], v255 offset:1600
	;; [unrolled: 1-line block ×16, first 2 shown]
.LBB0_3:
	s_or_b32 exec_lo, exec_lo, s0
	v_add_co_u32 v0, s0, 0xfffffce0, v255
	v_add_co_ci_u32_e64 v1, null, 0, -1, s0
	s_mov_b32 s14, 0x5d8e7cdc
	v_cndmask_b32_e32 v0, v0, v255, vcc_lo
	s_mov_b32 s15, 0xbfd71e95
	v_cndmask_b32_e64 v1, v1, 0, vcc_lo
	s_mov_b32 s20, 0x2a9d6da3
	s_mov_b32 s21, 0xbfe58eea
	;; [unrolled: 1-line block ×4, first 2 shown]
	v_lshlrev_b64 v[0:1], 4, v[0:1]
	s_mov_b32 s27, 0xbfeca52d
	s_mov_b32 s31, 0xbfefdd0d
	;; [unrolled: 1-line block ×5, first 2 shown]
	v_add_co_u32 v0, s0, s2, v0
	v_add_co_ci_u32_e64 v1, s0, s3, v1, s0
	s_mov_b32 s0, 0x370991
	s_mov_b32 s1, 0x3fedd6d0
	;; [unrolled: 1-line block ×3, first 2 shown]
	s_clause 0xf
	global_load_dwordx4 v[20:23], v[0:1], off offset:640
	global_load_dwordx4 v[62:65], v[0:1], off offset:880
	;; [unrolled: 1-line block ×16, first 2 shown]
	s_mov_b32 s3, 0x3fe7a5f6
	s_mov_b32 s13, 0x3fb79ee6
	;; [unrolled: 1-line block ×34, first 2 shown]
	s_waitcnt vmcnt(15) lgkmcnt(15)
	v_mul_f64 v[0:1], v[190:191], v[22:23]
	s_waitcnt vmcnt(14) lgkmcnt(0)
	v_mul_f64 v[4:5], v[200:201], v[64:65]
	v_mul_f64 v[2:3], v[188:189], v[22:23]
	;; [unrolled: 1-line block ×3, first 2 shown]
	s_waitcnt vmcnt(13)
	v_mul_f64 v[10:11], v[176:177], v[18:19]
	s_waitcnt vmcnt(12)
	v_mul_f64 v[12:13], v[196:197], v[84:85]
	v_mul_f64 v[8:9], v[178:179], v[18:19]
	;; [unrolled: 1-line block ×3, first 2 shown]
	v_fma_f64 v[40:41], v[188:189], v[20:21], -v[0:1]
	buffer_store_dword v20, off, s[56:59], 0 offset:416 ; 4-byte Folded Spill
	buffer_store_dword v21, off, s[56:59], 0 offset:420 ; 4-byte Folded Spill
	;; [unrolled: 1-line block ×4, first 2 shown]
	v_fma_f64 v[22:23], v[202:203], v[62:63], v[4:5]
	buffer_store_dword v62, off, s[56:59], 0 offset:432 ; 4-byte Folded Spill
	buffer_store_dword v63, off, s[56:59], 0 offset:436 ; 4-byte Folded Spill
	;; [unrolled: 1-line block ×4, first 2 shown]
	v_fma_f64 v[24:25], v[178:179], v[16:17], v[10:11]
	v_fma_f64 v[178:179], v[198:199], v[82:83], v[12:13]
	buffer_store_dword v16, off, s[56:59], 0 offset:368 ; 4-byte Folded Spill
	buffer_store_dword v17, off, s[56:59], 0 offset:372 ; 4-byte Folded Spill
	;; [unrolled: 1-line block ×8, first 2 shown]
	s_waitcnt vmcnt(11)
	v_mul_f64 v[0:1], v[174:175], v[76:77]
	s_waitcnt vmcnt(10)
	v_mul_f64 v[4:5], v[194:195], v[80:81]
	;; [unrolled: 2-line block ×3, first 2 shown]
	v_mul_f64 v[10:11], v[160:161], v[68:69]
	s_waitcnt vmcnt(6)
	v_mul_f64 v[18:19], v[180:181], v[28:29]
	v_add_f64 v[249:250], v[24:25], -v[178:179]
	v_fma_f64 v[86:87], v[190:191], v[20:21], v[2:3]
	v_mul_f64 v[2:3], v[172:173], v[76:77]
	v_fma_f64 v[20:21], v[200:201], v[62:63], -v[6:7]
	v_mul_f64 v[6:7], v[192:193], v[80:81]
	v_fma_f64 v[64:65], v[176:177], v[16:17], -v[8:9]
	v_fma_f64 v[176:177], v[196:197], v[82:83], -v[14:15]
	;; [unrolled: 1-line block ×3, first 2 shown]
	buffer_store_dword v74, off, s[56:59], 0 offset:480 ; 4-byte Folded Spill
	buffer_store_dword v75, off, s[56:59], 0 offset:484 ; 4-byte Folded Spill
	buffer_store_dword v76, off, s[56:59], 0 offset:488 ; 4-byte Folded Spill
	buffer_store_dword v77, off, s[56:59], 0 offset:492 ; 4-byte Folded Spill
	v_fma_f64 v[196:197], v[192:193], v[78:79], -v[4:5]
	buffer_store_dword v78, off, s[56:59], 0 offset:496 ; 4-byte Folded Spill
	buffer_store_dword v79, off, s[56:59], 0 offset:500 ; 4-byte Folded Spill
	;; [unrolled: 1-line block ×4, first 2 shown]
	v_mul_f64 v[8:9], v[162:163], v[68:69]
	v_mul_f64 v[14:15], v[184:185], v[72:73]
	;; [unrolled: 1-line block ×4, first 2 shown]
	v_add_f64 v[231:232], v[86:87], -v[22:23]
	v_add_f64 v[198:199], v[40:41], -v[20:21]
	buffer_store_dword v20, off, s[56:59], 0 offset:528 ; 4-byte Folded Spill
	buffer_store_dword v21, off, s[56:59], 0 offset:532 ; 4-byte Folded Spill
	;; [unrolled: 1-line block ×8, first 2 shown]
	v_add_f64 v[188:189], v[64:65], -v[176:177]
	v_fma_f64 v[76:77], v[160:161], v[66:67], -v[8:9]
	buffer_store_dword v66, off, s[56:59], 0 offset:448 ; 4-byte Folded Spill
	buffer_store_dword v67, off, s[56:59], 0 offset:452 ; 4-byte Folded Spill
	;; [unrolled: 1-line block ×4, first 2 shown]
	v_mul_f64 v[92:93], v[198:199], s[26:27]
	v_mul_f64 v[68:69], v[188:189], s[20:21]
	;; [unrolled: 1-line block ×3, first 2 shown]
	v_fma_f64 v[74:75], v[174:175], v[74:75], v[2:3]
	v_mul_f64 v[2:3], v[152:153], v[60:61]
	v_fma_f64 v[30:31], v[194:195], v[78:79], v[6:7]
	v_add_f64 v[6:7], v[40:41], v[20:21]
	v_fma_f64 v[40:41], v[184:185], v[70:71], -v[12:13]
	buffer_store_dword v70, off, s[56:59], 0 offset:464 ; 4-byte Folded Spill
	buffer_store_dword v71, off, s[56:59], 0 offset:468 ; 4-byte Folded Spill
	;; [unrolled: 1-line block ×6, first 2 shown]
	v_add_f64 v[16:17], v[86:87], v[22:23]
	v_mul_f64 v[20:21], v[231:232], s[14:15]
	v_mul_f64 v[22:23], v[198:199], s[14:15]
	buffer_store_dword v24, off, s[56:59], 0 offset:584 ; 4-byte Folded Spill
	buffer_store_dword v25, off, s[56:59], 0 offset:588 ; 4-byte Folded Spill
	v_add_f64 v[247:248], v[74:75], -v[30:31]
	s_waitcnt vmcnt(5)
	v_mul_f64 v[12:13], v[150:151], v[34:35]
	v_fma_f64 v[66:67], v[162:163], v[66:67], v[10:11]
	v_mul_f64 v[184:185], v[198:199], s[20:21]
	buffer_store_dword v20, off, s[56:59], 0 offset:816 ; 4-byte Folded Spill
	buffer_store_dword v21, off, s[56:59], 0 offset:820 ; 4-byte Folded Spill
	;; [unrolled: 1-line block ×4, first 2 shown]
	v_add_f64 v[172:173], v[76:77], -v[40:41]
	v_mul_f64 v[208:209], v[247:248], s[46:47]
	v_fma_f64 v[80:81], v[148:149], v[32:33], -v[12:13]
	v_mul_f64 v[206:207], v[172:173], s[46:47]
	v_mul_f64 v[88:89], v[172:173], s[38:39]
	v_fma_f64 v[62:63], v[186:187], v[70:71], v[14:15]
	v_fma_f64 v[70:71], v[152:153], v[58:59], -v[0:1]
	buffer_store_dword v58, off, s[56:59], 0 offset:400 ; 4-byte Folded Spill
	buffer_store_dword v59, off, s[56:59], 0 offset:404 ; 4-byte Folded Spill
	;; [unrolled: 1-line block ×4, first 2 shown]
	v_add_f64 v[192:193], v[64:65], v[176:177]
	v_mul_f64 v[64:65], v[249:250], s[20:21]
	v_add_f64 v[14:15], v[82:83], -v[196:197]
	v_mul_f64 v[186:187], v[231:232], s[26:27]
	v_add_f64 v[194:195], v[24:25], v[178:179]
	s_waitcnt vmcnt(4)
	v_mul_f64 v[24:25], v[168:169], v[38:39]
	v_mul_f64 v[152:153], v[198:199], s[34:35]
	v_add_f64 v[215:216], v[66:67], -v[62:63]
	v_fma_f64 v[8:9], v[6:7], s[0:1], v[20:21]
	v_fma_f64 v[10:11], v[16:17], s[0:1], -v[22:23]
	v_mul_f64 v[22:23], v[170:171], v[38:39]
	v_mul_f64 v[20:21], v[148:149], v[34:35]
	;; [unrolled: 1-line block ×7, first 2 shown]
	v_add_f64 v[10:11], v[166:167], v[10:11]
	v_fma_f64 v[72:73], v[154:155], v[58:59], v[2:3]
	v_fma_f64 v[58:59], v[180:181], v[26:27], -v[4:5]
	buffer_store_dword v26, off, s[56:59], 0 offset:384 ; 4-byte Folded Spill
	buffer_store_dword v27, off, s[56:59], 0 offset:388 ; 4-byte Folded Spill
	buffer_store_dword v28, off, s[56:59], 0 offset:392 ; 4-byte Folded Spill
	buffer_store_dword v29, off, s[56:59], 0 offset:396 ; 4-byte Folded Spill
	buffer_store_dword v82, off, s[56:59], 0 offset:608 ; 4-byte Folded Spill
	buffer_store_dword v83, off, s[56:59], 0 offset:612 ; 4-byte Folded Spill
	buffer_store_dword v30, off, s[56:59], 0 offset:544 ; 4-byte Folded Spill
	buffer_store_dword v31, off, s[56:59], 0 offset:548 ; 4-byte Folded Spill
	buffer_store_dword v74, off, s[56:59], 0 offset:616 ; 4-byte Folded Spill
	buffer_store_dword v75, off, s[56:59], 0 offset:620 ; 4-byte Folded Spill
	buffer_store_dword v64, off, s[56:59], 0 offset:664 ; 4-byte Folded Spill
	buffer_store_dword v65, off, s[56:59], 0 offset:668 ; 4-byte Folded Spill
	buffer_store_dword v68, off, s[56:59], 0 offset:672 ; 4-byte Folded Spill
	buffer_store_dword v69, off, s[56:59], 0 offset:676 ; 4-byte Folded Spill
	buffer_store_dword v32, off, s[56:59], 0 offset:336 ; 4-byte Folded Spill
	buffer_store_dword v33, off, s[56:59], 0 offset:340 ; 4-byte Folded Spill
	buffer_store_dword v34, off, s[56:59], 0 offset:344 ; 4-byte Folded Spill
	buffer_store_dword v35, off, s[56:59], 0 offset:348 ; 4-byte Folded Spill
	s_waitcnt vmcnt(2)
	v_mul_f64 v[28:29], v[158:159], v[56:57]
	v_add_f64 v[4:5], v[164:165], v[8:9]
	s_waitcnt vmcnt(1)
	v_mul_f64 v[34:35], v[136:137], v[44:45]
	v_mul_f64 v[180:181], v[172:173], s[44:45]
	;; [unrolled: 1-line block ×3, first 2 shown]
	v_add_f64 v[8:9], v[70:71], -v[58:59]
	v_mul_f64 v[223:224], v[8:9], s[14:15]
	v_fma_f64 v[60:61], v[182:183], v[26:27], v[18:19]
	v_mul_f64 v[18:19], v[146:147], v[52:53]
	v_mul_f64 v[26:27], v[144:145], v[52:53]
	v_add_f64 v[217:218], v[82:83], v[196:197]
	v_add_f64 v[219:220], v[74:75], v[30:31]
	v_fma_f64 v[0:1], v[192:193], s[2:3], v[64:65]
	v_fma_f64 v[64:65], v[168:169], v[36:37], -v[22:23]
	buffer_store_dword v36, off, s[56:59], 0 offset:352 ; 4-byte Folded Spill
	buffer_store_dword v37, off, s[56:59], 0 offset:356 ; 4-byte Folded Spill
	;; [unrolled: 1-line block ×12, first 2 shown]
	v_mul_f64 v[74:75], v[247:248], s[26:27]
	v_fma_f64 v[2:3], v[194:195], s[2:3], -v[68:69]
	v_fma_f64 v[82:83], v[150:151], v[32:33], v[20:21]
	v_mul_f64 v[32:33], v[215:216], s[30:31]
	v_mul_f64 v[30:31], v[156:157], v[56:57]
	buffer_store_dword v74, off, s[56:59], 0 offset:696 ; 4-byte Folded Spill
	buffer_store_dword v75, off, s[56:59], 0 offset:700 ; 4-byte Folded Spill
	v_add_f64 v[20:21], v[72:73], -v[60:61]
	buffer_store_dword v78, off, s[56:59], 0 offset:704 ; 4-byte Folded Spill
	buffer_store_dword v79, off, s[56:59], 0 offset:708 ; 4-byte Folded Spill
	v_add_f64 v[10:11], v[2:3], v[10:11]
	v_fma_f64 v[2:3], v[144:145], v[50:51], -v[18:19]
	buffer_store_dword v50, off, s[56:59], 0 offset:304 ; 4-byte Folded Spill
	buffer_store_dword v51, off, s[56:59], 0 offset:308 ; 4-byte Folded Spill
	;; [unrolled: 1-line block ×4, first 2 shown]
	v_mul_f64 v[38:39], v[172:173], s[30:31]
	v_add_f64 v[0:1], v[0:1], v[4:5]
	v_mul_f64 v[52:53], v[8:9], s[16:17]
	v_add_f64 v[213:214], v[80:81], -v[64:65]
	v_mul_f64 v[182:183], v[231:232], s[20:21]
	v_mul_f64 v[144:145], v[198:199], s[30:31]
	;; [unrolled: 1-line block ×4, first 2 shown]
	v_fma_f64 v[68:69], v[170:171], v[36:37], v[24:25]
	v_mul_f64 v[24:25], v[138:139], v[44:45]
	s_waitcnt vmcnt(0)
	v_mul_f64 v[36:37], v[142:143], v[48:49]
	v_add_f64 v[233:234], v[76:77], v[40:41]
	v_add_f64 v[237:238], v[66:67], v[62:63]
	v_fma_f64 v[62:63], v[156:157], v[54:55], -v[28:29]
	buffer_store_dword v54, off, s[56:59], 0 offset:320 ; 4-byte Folded Spill
	buffer_store_dword v55, off, s[56:59], 0 offset:324 ; 4-byte Folded Spill
	;; [unrolled: 1-line block ×16, first 2 shown]
	v_mul_f64 v[40:41], v[140:141], v[48:49]
	v_mul_f64 v[76:77], v[188:189], s[46:47]
	;; [unrolled: 1-line block ×4, first 2 shown]
	v_add_f64 v[229:230], v[82:83], -v[68:69]
	v_add_f64 v[18:19], v[2:3], -v[62:63]
	v_fma_f64 v[12:13], v[217:218], s[6:7], v[74:75]
	v_fma_f64 v[22:23], v[219:220], s[6:7], -v[78:79]
	v_fma_f64 v[4:5], v[146:147], v[50:51], v[26:27]
	v_mul_f64 v[50:51], v[20:21], s[16:17]
	v_mul_f64 v[146:147], v[231:232], s[16:17]
	;; [unrolled: 1-line block ×3, first 2 shown]
	v_add_f64 v[12:13], v[12:13], v[0:1]
	v_add_f64 v[10:11], v[22:23], v[10:11]
	v_fma_f64 v[253:254], v[158:159], v[54:55], v[30:31]
	v_fma_f64 v[30:31], v[140:141], v[46:47], -v[36:37]
	v_mul_f64 v[54:55], v[188:189], s[30:31]
	v_add_f64 v[225:226], v[70:71], v[58:59]
	v_add_f64 v[227:228], v[72:73], v[60:61]
	v_fma_f64 v[26:27], v[233:234], s[12:13], v[32:33]
	v_fma_f64 v[32:33], v[136:137], v[42:43], -v[24:25]
	buffer_store_dword v42, off, s[56:59], 0 offset:272 ; 4-byte Folded Spill
	buffer_store_dword v43, off, s[56:59], 0 offset:276 ; 4-byte Folded Spill
	;; [unrolled: 1-line block ×20, first 2 shown]
	v_fma_f64 v[28:29], v[237:238], s[12:13], -v[38:39]
	buffer_store_dword v62, off, s[56:59], 0 offset:776 ; 4-byte Folded Spill
	buffer_store_dword v63, off, s[56:59], 0 offset:780 ; 4-byte Folded Spill
	v_mul_f64 v[140:141], v[231:232], s[30:31]
	v_mul_f64 v[70:71], v[247:248], s[14:15]
	v_add_f64 v[24:25], v[4:5], -v[253:254]
	v_add_f64 v[245:246], v[4:5], v[253:254]
	v_add_f64 v[12:13], v[26:27], v[12:13]
	v_add_f64 v[44:45], v[32:33], -v[30:31]
	v_add_f64 v[10:11], v[28:29], v[10:11]
	v_mul_f64 v[48:49], v[44:45], s[50:51]
	v_fma_f64 v[38:39], v[138:139], v[42:43], v[34:35]
	v_fma_f64 v[34:35], v[142:143], v[46:47], v[40:41]
	v_mul_f64 v[40:41], v[229:230], s[34:35]
	v_mul_f64 v[42:43], v[213:214], s[34:35]
	buffer_store_dword v40, off, s[56:59], 0 offset:760 ; 4-byte Folded Spill
	buffer_store_dword v41, off, s[56:59], 0 offset:764 ; 4-byte Folded Spill
	v_fma_f64 v[22:23], v[225:226], s[18:19], v[50:51]
	v_fma_f64 v[36:37], v[227:228], s[18:19], -v[52:53]
	v_add_f64 v[190:191], v[38:39], -v[34:35]
	v_mul_f64 v[50:51], v[24:25], s[38:39]
	v_mul_f64 v[52:53], v[18:19], s[38:39]
	buffer_store_dword v42, off, s[56:59], 0 offset:768 ; 4-byte Folded Spill
	buffer_store_dword v43, off, s[56:59], 0 offset:772 ; 4-byte Folded Spill
	buffer_store_dword v50, off, s[56:59], 0 offset:800 ; 4-byte Folded Spill
	buffer_store_dword v51, off, s[56:59], 0 offset:804 ; 4-byte Folded Spill
	v_mul_f64 v[46:47], v[190:191], s[50:51]
	buffer_store_dword v52, off, s[56:59], 0 offset:808 ; 4-byte Folded Spill
	buffer_store_dword v53, off, s[56:59], 0 offset:812 ; 4-byte Folded Spill
	;; [unrolled: 1-line block ×6, first 2 shown]
	v_add_f64 v[235:236], v[80:81], v[64:65]
	v_add_f64 v[0:1], v[82:83], v[68:69]
	;; [unrolled: 1-line block ×7, first 2 shown]
	v_mul_f64 v[82:83], v[14:15], s[14:15]
	v_fma_f64 v[26:27], v[235:236], s[22:23], v[40:41]
	v_fma_f64 v[28:29], v[0:1], s[22:23], -v[42:43]
	v_add_f64 v[22:23], v[26:27], v[22:23]
	v_fma_f64 v[40:41], v[239:240], s[24:25], v[50:51]
	v_mul_f64 v[50:51], v[247:248], s[34:35]
	v_fma_f64 v[42:43], v[245:246], s[24:25], -v[52:53]
	v_add_f64 v[26:27], v[28:29], v[36:37]
	v_mul_f64 v[52:53], v[249:250], s[30:31]
	v_add_f64 v[22:23], v[40:41], v[22:23]
	v_fma_f64 v[28:29], v[10:11], s[28:29], v[46:47]
	v_fma_f64 v[36:37], v[12:13], s[28:29], -v[48:49]
	v_add_f64 v[26:27], v[42:43], v[26:27]
	v_fma_f64 v[42:43], v[16:17], s[2:3], -v[184:185]
	v_fma_f64 v[40:41], v[6:7], s[2:3], v[182:183]
	v_add_f64 v[46:47], v[28:29], v[22:23]
	v_add_f64 v[48:49], v[36:37], v[26:27]
	buffer_store_dword v46, off, s[56:59], 0 offset:64 ; 4-byte Folded Spill
	buffer_store_dword v47, off, s[56:59], 0 offset:68 ; 4-byte Folded Spill
	;; [unrolled: 1-line block ×8, first 2 shown]
	v_add_f64 v[36:37], v[166:167], v[42:43]
	buffer_store_dword v50, off, s[56:59], 0 offset:1008 ; 4-byte Folded Spill
	buffer_store_dword v51, off, s[56:59], 0 offset:1012 ; 4-byte Folded Spill
	v_add_f64 v[26:27], v[164:165], v[40:41]
	v_mul_f64 v[46:47], v[14:15], s[46:47]
	v_fma_f64 v[22:23], v[192:193], s[12:13], v[52:53]
	v_fma_f64 v[28:29], v[194:195], s[12:13], -v[54:55]
	v_add_f64 v[22:23], v[22:23], v[26:27]
	v_add_f64 v[28:29], v[28:29], v[36:37]
	v_mul_f64 v[36:37], v[14:15], s[34:35]
	buffer_store_dword v36, off, s[56:59], 0 offset:1080 ; 4-byte Folded Spill
	buffer_store_dword v37, off, s[56:59], 0 offset:1084 ; 4-byte Folded Spill
	v_fma_f64 v[26:27], v[217:218], s[22:23], v[50:51]
	v_add_f64 v[22:23], v[26:27], v[22:23]
	v_fma_f64 v[26:27], v[219:220], s[22:23], -v[36:37]
	v_add_f64 v[26:27], v[26:27], v[28:29]
	v_mul_f64 v[28:29], v[215:216], s[50:51]
	buffer_store_dword v28, off, s[56:59], 0 offset:960 ; 4-byte Folded Spill
	buffer_store_dword v29, off, s[56:59], 0 offset:964 ; 4-byte Folded Spill
	v_fma_f64 v[28:29], v[233:234], s[28:29], v[28:29]
	v_add_f64 v[22:23], v[28:29], v[22:23]
	v_mul_f64 v[28:29], v[172:173], s[50:51]
	buffer_store_dword v28, off, s[56:59], 0 offset:984 ; 4-byte Folded Spill
	buffer_store_dword v29, off, s[56:59], 0 offset:988 ; 4-byte Folded Spill
	v_fma_f64 v[28:29], v[237:238], s[28:29], -v[28:29]
	v_add_f64 v[26:27], v[28:29], v[26:27]
	v_mul_f64 v[28:29], v[20:21], s[42:43]
	buffer_store_dword v28, off, s[56:59], 0 offset:912 ; 4-byte Folded Spill
	buffer_store_dword v29, off, s[56:59], 0 offset:916 ; 4-byte Folded Spill
	v_fma_f64 v[28:29], v[225:226], s[24:25], v[28:29]
	v_add_f64 v[22:23], v[28:29], v[22:23]
	v_mul_f64 v[28:29], v[8:9], s[42:43]
	buffer_store_dword v28, off, s[56:59], 0 offset:936 ; 4-byte Folded Spill
	buffer_store_dword v29, off, s[56:59], 0 offset:940 ; 4-byte Folded Spill
	;; [unrolled: 10-line block ×5, first 2 shown]
	v_fma_f64 v[28:29], v[194:195], s[22:23], -v[202:203]
	v_fma_f64 v[22:23], v[12:13], s[0:1], -v[22:23]
	v_add_f64 v[42:43], v[22:23], v[26:27]
	v_mul_f64 v[26:27], v[249:250], s[34:35]
	buffer_store_dword v40, off, s[56:59], 0 offset:96 ; 4-byte Folded Spill
	buffer_store_dword v41, off, s[56:59], 0 offset:100 ; 4-byte Folded Spill
	;; [unrolled: 1-line block ×6, first 2 shown]
	v_fma_f64 v[22:23], v[6:7], s[6:7], v[186:187]
	v_add_f64 v[22:23], v[164:165], v[22:23]
	v_fma_f64 v[26:27], v[192:193], s[22:23], v[26:27]
	v_add_f64 v[22:23], v[26:27], v[22:23]
	v_fma_f64 v[26:27], v[16:17], s[6:7], -v[92:93]
	v_add_f64 v[26:27], v[166:167], v[26:27]
	v_add_f64 v[26:27], v[28:29], v[26:27]
	v_mul_f64 v[28:29], v[247:248], s[54:55]
	buffer_store_dword v28, off, s[56:59], 0 offset:1096 ; 4-byte Folded Spill
	buffer_store_dword v29, off, s[56:59], 0 offset:1100 ; 4-byte Folded Spill
	v_fma_f64 v[28:29], v[217:218], s[28:29], v[28:29]
	v_add_f64 v[22:23], v[28:29], v[22:23]
	v_fma_f64 v[28:29], v[219:220], s[28:29], -v[174:175]
	v_add_f64 v[26:27], v[28:29], v[26:27]
	v_mul_f64 v[28:29], v[215:216], s[46:47]
	buffer_store_dword v28, off, s[56:59], 0 offset:1104 ; 4-byte Folded Spill
	buffer_store_dword v29, off, s[56:59], 0 offset:1108 ; 4-byte Folded Spill
	v_fma_f64 v[28:29], v[233:234], s[18:19], v[28:29]
	v_add_f64 v[22:23], v[28:29], v[22:23]
	v_fma_f64 v[28:29], v[237:238], s[18:19], -v[206:207]
	v_add_f64 v[26:27], v[28:29], v[26:27]
	v_mul_f64 v[28:29], v[20:21], s[48:49]
	buffer_store_dword v28, off, s[56:59], 0 offset:1112 ; 4-byte Folded Spill
	buffer_store_dword v29, off, s[56:59], 0 offset:1116 ; 4-byte Folded Spill
	v_fma_f64 v[28:29], v[225:226], s[2:3], v[28:29]
	v_add_f64 v[28:29], v[28:29], v[22:23]
	v_mul_f64 v[22:23], v[8:9], s[48:49]
	v_fma_f64 v[36:37], v[227:228], s[2:3], -v[22:23]
	v_add_f64 v[26:27], v[36:37], v[26:27]
	v_mul_f64 v[36:37], v[229:230], s[14:15]
	buffer_store_dword v36, off, s[56:59], 0 offset:920 ; 4-byte Folded Spill
	buffer_store_dword v37, off, s[56:59], 0 offset:924 ; 4-byte Folded Spill
	v_fma_f64 v[36:37], v[235:236], s[0:1], v[36:37]
	v_add_f64 v[28:29], v[36:37], v[28:29]
	v_mul_f64 v[36:37], v[213:214], s[14:15]
	buffer_store_dword v36, off, s[56:59], 0 offset:928 ; 4-byte Folded Spill
	buffer_store_dword v37, off, s[56:59], 0 offset:932 ; 4-byte Folded Spill
	v_fma_f64 v[36:37], v[0:1], s[0:1], -v[36:37]
	v_add_f64 v[26:27], v[36:37], v[26:27]
	v_mul_f64 v[36:37], v[24:25], s[30:31]
	buffer_store_dword v36, off, s[56:59], 0 offset:896 ; 4-byte Folded Spill
	buffer_store_dword v37, off, s[56:59], 0 offset:900 ; 4-byte Folded Spill
	v_fma_f64 v[36:37], v[239:240], s[12:13], v[36:37]
	v_add_f64 v[28:29], v[36:37], v[28:29]
	v_mul_f64 v[36:37], v[18:19], s[30:31]
	buffer_store_dword v36, off, s[56:59], 0 offset:904 ; 4-byte Folded Spill
	buffer_store_dword v37, off, s[56:59], 0 offset:908 ; 4-byte Folded Spill
	v_fma_f64 v[36:37], v[245:246], s[12:13], -v[36:37]
	v_add_f64 v[26:27], v[36:37], v[26:27]
	v_mul_f64 v[36:37], v[190:191], s[38:39]
	buffer_store_dword v36, off, s[56:59], 0 offset:880 ; 4-byte Folded Spill
	buffer_store_dword v37, off, s[56:59], 0 offset:884 ; 4-byte Folded Spill
	v_fma_f64 v[36:37], v[10:11], s[24:25], v[36:37]
	v_add_f64 v[40:41], v[36:37], v[28:29]
	v_mul_f64 v[28:29], v[44:45], s[38:39]
	buffer_store_dword v28, off, s[56:59], 0 offset:888 ; 4-byte Folded Spill
	buffer_store_dword v29, off, s[56:59], 0 offset:892 ; 4-byte Folded Spill
	v_fma_f64 v[28:29], v[12:13], s[24:25], -v[28:29]
	v_add_f64 v[42:43], v[28:29], v[26:27]
	v_fma_f64 v[26:27], v[6:7], s[12:13], v[140:141]
	buffer_store_dword v40, off, s[56:59], 0 offset:80 ; 4-byte Folded Spill
	buffer_store_dword v41, off, s[56:59], 0 offset:84 ; 4-byte Folded Spill
	;; [unrolled: 1-line block ×4, first 2 shown]
	v_add_f64 v[28:29], v[164:165], v[26:27]
	v_mul_f64 v[26:27], v[249:250], s[50:51]
	v_mul_f64 v[42:43], v[188:189], s[50:51]
	v_fma_f64 v[36:37], v[192:193], s[28:29], v[26:27]
	v_fma_f64 v[40:41], v[194:195], s[28:29], -v[42:43]
	v_add_f64 v[28:29], v[36:37], v[28:29]
	v_fma_f64 v[36:37], v[16:17], s[12:13], -v[144:145]
	v_add_f64 v[36:37], v[166:167], v[36:37]
	v_add_f64 v[36:37], v[40:41], v[36:37]
	v_fma_f64 v[40:41], v[217:218], s[18:19], v[208:209]
	v_add_f64 v[28:29], v[40:41], v[28:29]
	v_fma_f64 v[40:41], v[219:220], s[18:19], -v[46:47]
	v_add_f64 v[36:37], v[40:41], v[36:37]
	v_fma_f64 v[40:41], v[233:234], s[0:1], v[210:211]
	v_add_f64 v[28:29], v[40:41], v[28:29]
	v_fma_f64 v[40:41], v[237:238], s[0:1], -v[180:181]
	v_add_f64 v[36:37], v[40:41], v[36:37]
	v_mul_f64 v[40:41], v[20:21], s[26:27]
	v_fma_f64 v[48:49], v[225:226], s[6:7], v[40:41]
	v_add_f64 v[28:29], v[48:49], v[28:29]
	v_mul_f64 v[48:49], v[8:9], s[26:27]
	v_fma_f64 v[50:51], v[227:228], s[6:7], -v[48:49]
	v_add_f64 v[36:37], v[50:51], v[36:37]
	v_mul_f64 v[50:51], v[229:230], s[38:39]
	buffer_store_dword v50, off, s[56:59], 0 offset:992 ; 4-byte Folded Spill
	buffer_store_dword v51, off, s[56:59], 0 offset:996 ; 4-byte Folded Spill
	v_fma_f64 v[50:51], v[235:236], s[24:25], v[50:51]
	v_add_f64 v[28:29], v[50:51], v[28:29]
	v_mul_f64 v[50:51], v[213:214], s[38:39]
	buffer_store_dword v50, off, s[56:59], 0 offset:1000 ; 4-byte Folded Spill
	buffer_store_dword v51, off, s[56:59], 0 offset:1004 ; 4-byte Folded Spill
	v_fma_f64 v[50:51], v[0:1], s[24:25], -v[50:51]
	v_add_f64 v[36:37], v[50:51], v[36:37]
	v_mul_f64 v[50:51], v[24:25], s[52:53]
	buffer_store_dword v50, off, s[56:59], 0 offset:968 ; 4-byte Folded Spill
	buffer_store_dword v51, off, s[56:59], 0 offset:972 ; 4-byte Folded Spill
	v_fma_f64 v[50:51], v[239:240], s[22:23], v[50:51]
	v_add_f64 v[28:29], v[50:51], v[28:29]
	v_mul_f64 v[50:51], v[18:19], s[52:53]
	buffer_store_dword v50, off, s[56:59], 0 offset:976 ; 4-byte Folded Spill
	buffer_store_dword v51, off, s[56:59], 0 offset:980 ; 4-byte Folded Spill
	;; [unrolled: 10-line block ×3, first 2 shown]
	v_fma_f64 v[28:29], v[12:13], s[2:3], -v[28:29]
	v_add_f64 v[52:53], v[28:29], v[36:37]
	buffer_store_dword v50, off, s[56:59], 0 ; 4-byte Folded Spill
	buffer_store_dword v51, off, s[56:59], 0 offset:4 ; 4-byte Folded Spill
	buffer_store_dword v52, off, s[56:59], 0 offset:8 ; 4-byte Folded Spill
	;; [unrolled: 1-line block ×3, first 2 shown]
	v_fma_f64 v[28:29], v[6:7], s[18:19], v[146:147]
	v_mul_f64 v[50:51], v[249:250], s[42:43]
	v_add_f64 v[28:29], v[164:165], v[28:29]
	v_fma_f64 v[36:37], v[192:193], s[24:25], v[50:51]
	v_add_f64 v[36:37], v[36:37], v[28:29]
	v_fma_f64 v[28:29], v[16:17], s[18:19], -v[148:149]
	v_add_f64 v[52:53], v[166:167], v[28:29]
	v_mul_f64 v[28:29], v[188:189], s[42:43]
	v_fma_f64 v[54:55], v[194:195], s[24:25], -v[28:29]
	v_add_f64 v[54:55], v[54:55], v[52:53]
	v_mul_f64 v[52:53], v[247:248], s[48:49]
	v_fma_f64 v[56:57], v[217:218], s[2:3], v[52:53]
	v_add_f64 v[36:37], v[56:57], v[36:37]
	v_mul_f64 v[56:57], v[14:15], s[48:49]
	v_fma_f64 v[58:59], v[219:220], s[2:3], -v[56:57]
	v_add_f64 v[58:59], v[58:59], v[54:55]
	v_mul_f64 v[54:55], v[215:216], s[26:27]
	v_fma_f64 v[60:61], v[233:234], s[6:7], v[54:55]
	;; [unrolled: 6-line block ×3, first 2 shown]
	v_add_f64 v[36:37], v[62:63], v[36:37]
	v_mul_f64 v[62:63], v[8:9], s[50:51]
	v_fma_f64 v[66:67], v[227:228], s[28:29], -v[62:63]
	v_add_f64 v[64:65], v[66:67], v[64:65]
	v_mul_f64 v[66:67], v[229:230], s[36:37]
	buffer_store_dword v66, off, s[56:59], 0 offset:1064 ; 4-byte Folded Spill
	buffer_store_dword v67, off, s[56:59], 0 offset:1068 ; 4-byte Folded Spill
	v_fma_f64 v[66:67], v[235:236], s[12:13], v[66:67]
	v_add_f64 v[36:37], v[66:67], v[36:37]
	v_mul_f64 v[66:67], v[213:214], s[36:37]
	buffer_store_dword v66, off, s[56:59], 0 offset:1072 ; 4-byte Folded Spill
	buffer_store_dword v67, off, s[56:59], 0 offset:1076 ; 4-byte Folded Spill
	v_fma_f64 v[66:67], v[0:1], s[12:13], -v[66:67]
	v_add_f64 v[64:65], v[66:67], v[64:65]
	v_mul_f64 v[66:67], v[24:25], s[14:15]
	buffer_store_dword v66, off, s[56:59], 0 offset:1032 ; 4-byte Folded Spill
	buffer_store_dword v67, off, s[56:59], 0 offset:1036 ; 4-byte Folded Spill
	v_fma_f64 v[66:67], v[239:240], s[0:1], v[66:67]
	v_add_f64 v[36:37], v[66:67], v[36:37]
	v_mul_f64 v[66:67], v[18:19], s[14:15]
	buffer_store_dword v66, off, s[56:59], 0 offset:1048 ; 4-byte Folded Spill
	buffer_store_dword v67, off, s[56:59], 0 offset:1052 ; 4-byte Folded Spill
	v_fma_f64 v[66:67], v[245:246], s[0:1], -v[66:67]
	v_add_f64 v[64:65], v[66:67], v[64:65]
	v_mul_f64 v[66:67], v[190:191], s[34:35]
	buffer_store_dword v66, off, s[56:59], 0 offset:1016 ; 4-byte Folded Spill
	buffer_store_dword v67, off, s[56:59], 0 offset:1020 ; 4-byte Folded Spill
	v_fma_f64 v[66:67], v[10:11], s[22:23], v[66:67]
	v_add_f64 v[66:67], v[66:67], v[36:37]
	v_mul_f64 v[36:37], v[44:45], s[34:35]
	buffer_store_dword v36, off, s[56:59], 0 offset:1024 ; 4-byte Folded Spill
	buffer_store_dword v37, off, s[56:59], 0 offset:1028 ; 4-byte Folded Spill
	v_fma_f64 v[36:37], v[12:13], s[22:23], -v[36:37]
	v_add_f64 v[68:69], v[36:37], v[64:65]
	v_fma_f64 v[36:37], v[6:7], s[22:23], v[150:151]
	v_mul_f64 v[64:65], v[249:250], s[46:47]
	buffer_store_dword v66, off, s[56:59], 0 offset:32 ; 4-byte Folded Spill
	buffer_store_dword v67, off, s[56:59], 0 offset:36 ; 4-byte Folded Spill
	;; [unrolled: 1-line block ×4, first 2 shown]
	v_add_f64 v[36:37], v[164:165], v[36:37]
	v_fma_f64 v[66:67], v[192:193], s[18:19], v[64:65]
	v_fma_f64 v[68:69], v[194:195], s[18:19], -v[76:77]
	v_add_f64 v[36:37], v[66:67], v[36:37]
	v_fma_f64 v[66:67], v[16:17], s[22:23], -v[152:153]
	v_add_f64 v[66:67], v[166:167], v[66:67]
	v_add_f64 v[66:67], v[68:69], v[66:67]
	v_fma_f64 v[68:69], v[217:218], s[0:1], v[70:71]
	v_add_f64 v[36:37], v[68:69], v[36:37]
	v_fma_f64 v[68:69], v[219:220], s[0:1], -v[82:83]
	v_add_f64 v[68:69], v[68:69], v[66:67]
	v_mul_f64 v[66:67], v[215:216], s[38:39]
	v_fma_f64 v[72:73], v[233:234], s[24:25], v[66:67]
	v_add_f64 v[36:37], v[72:73], v[36:37]
	v_fma_f64 v[72:73], v[237:238], s[24:25], -v[88:89]
	v_add_f64 v[72:73], v[72:73], v[68:69]
	v_mul_f64 v[68:69], v[20:21], s[36:37]
	;; [unrolled: 5-line block ×3, first 2 shown]
	v_fma_f64 v[80:81], v[235:236], s[2:3], v[72:73]
	v_add_f64 v[36:37], v[80:81], v[36:37]
	v_mul_f64 v[80:81], v[213:214], s[20:21]
	v_fma_f64 v[84:85], v[0:1], s[2:3], -v[80:81]
	v_add_f64 v[86:87], v[84:85], v[74:75]
	v_mul_f64 v[74:75], v[24:25], s[50:51]
	v_fma_f64 v[84:85], v[239:240], s[28:29], v[74:75]
	v_add_f64 v[36:37], v[84:85], v[36:37]
	v_mul_f64 v[84:85], v[18:19], s[50:51]
	v_fma_f64 v[90:91], v[245:246], s[28:29], -v[84:85]
	v_add_f64 v[94:95], v[90:91], v[86:87]
	v_mul_f64 v[86:87], v[190:191], s[40:41]
	v_fma_f64 v[90:91], v[10:11], s[6:7], v[86:87]
	v_add_f64 v[96:97], v[90:91], v[36:37]
	v_mul_f64 v[90:91], v[44:45], s[40:41]
	v_fma_f64 v[36:37], v[12:13], s[6:7], -v[90:91]
	v_add_f64 v[98:99], v[36:37], v[94:95]
	v_fma_f64 v[36:37], v[6:7], s[24:25], v[154:155]
	v_fma_f64 v[94:95], v[192:193], s[6:7], v[168:169]
	buffer_store_dword v96, off, s[56:59], 0 offset:16 ; 4-byte Folded Spill
	buffer_store_dword v97, off, s[56:59], 0 offset:20 ; 4-byte Folded Spill
	;; [unrolled: 1-line block ×4, first 2 shown]
	v_add_f64 v[36:37], v[164:165], v[36:37]
	v_mul_f64 v[96:97], v[188:189], s[40:41]
	v_add_f64 v[36:37], v[94:95], v[36:37]
	v_fma_f64 v[94:95], v[16:17], s[24:25], -v[156:157]
	v_fma_f64 v[98:99], v[194:195], s[6:7], -v[96:97]
	v_add_f64 v[94:95], v[166:167], v[94:95]
	v_add_f64 v[100:101], v[98:99], v[94:95]
	v_mul_f64 v[94:95], v[247:248], s[30:31]
	v_fma_f64 v[98:99], v[217:218], s[12:13], v[94:95]
	v_add_f64 v[36:37], v[98:99], v[36:37]
	v_mul_f64 v[98:99], v[14:15], s[30:31]
	v_fma_f64 v[102:103], v[219:220], s[12:13], -v[98:99]
	v_add_f64 v[100:101], v[102:103], v[100:101]
	v_fma_f64 v[102:103], v[233:234], s[22:23], v[200:201]
	v_add_f64 v[36:37], v[102:103], v[36:37]
	v_mul_f64 v[102:103], v[172:173], s[52:53]
	v_fma_f64 v[136:137], v[237:238], s[22:23], -v[102:103]
	v_add_f64 v[100:101], v[136:137], v[100:101]
	v_fma_f64 v[136:137], v[225:226], s[0:1], v[170:171]
	v_add_f64 v[136:137], v[136:137], v[36:37]
	v_fma_f64 v[36:37], v[227:228], s[0:1], -v[223:224]
	v_add_f64 v[100:101], v[36:37], v[100:101]
	v_mul_f64 v[36:37], v[229:230], s[50:51]
	v_fma_f64 v[138:139], v[235:236], s[28:29], v[36:37]
	v_add_f64 v[138:139], v[138:139], v[136:137]
	v_mul_f64 v[136:137], v[213:214], s[50:51]
	v_fma_f64 v[142:143], v[0:1], s[28:29], -v[136:137]
	v_add_f64 v[142:143], v[142:143], v[100:101]
	v_mul_f64 v[100:101], v[24:25], s[48:49]
	v_fma_f64 v[221:222], v[239:240], s[2:3], v[100:101]
	v_add_f64 v[160:161], v[221:222], v[138:139]
	v_mul_f64 v[138:139], v[18:19], s[48:49]
	v_mul_f64 v[221:222], v[190:191], s[16:17]
	v_fma_f64 v[162:163], v[245:246], s[2:3], -v[138:139]
	v_add_f64 v[162:163], v[162:163], v[142:143]
	v_fma_f64 v[142:143], v[10:11], s[18:19], v[221:222]
	v_add_f64 v[158:159], v[142:143], v[160:161]
	v_mul_f64 v[142:143], v[44:45], s[16:17]
	v_fma_f64 v[160:161], v[12:13], s[18:19], -v[142:143]
	v_add_f64 v[160:161], v[160:161], v[162:163]
	buffer_store_dword v158, off, s[56:59], 0 offset:48 ; 4-byte Folded Spill
	buffer_store_dword v159, off, s[56:59], 0 offset:52 ; 4-byte Folded Spill
	;; [unrolled: 1-line block ×4, first 2 shown]
	s_and_saveexec_b32 s33, vcc_lo
	s_cbranch_execz .LBB0_5
; %bb.4:
	s_clause 0x1
	buffer_load_dword v158, off, s[56:59], 0 offset:840
	buffer_load_dword v159, off, s[56:59], 0 offset:844
	v_mul_f64 v[160:161], v[16:17], s[28:29]
	v_mul_f64 v[20:21], v[20:21], s[34:35]
	v_mul_f64 v[24:25], v[24:25], s[16:17]
	v_fma_f64 v[162:163], v[198:199], s[54:55], v[160:161]
	v_fma_f64 v[160:161], v[198:199], s[50:51], v[160:161]
	v_mul_f64 v[198:199], v[16:17], s[24:25]
	v_add_f64 v[162:163], v[166:167], v[162:163]
	v_add_f64 v[160:161], v[166:167], v[160:161]
	;; [unrolled: 1-line block ×3, first 2 shown]
	v_mul_f64 v[198:199], v[6:7], s[24:25]
	v_add_f64 v[156:157], v[166:167], v[156:157]
	v_add_f64 v[154:155], v[198:199], -v[154:155]
	v_mul_f64 v[198:199], v[16:17], s[22:23]
	v_add_f64 v[154:155], v[164:165], v[154:155]
	v_add_f64 v[152:153], v[152:153], v[198:199]
	v_mul_f64 v[198:199], v[6:7], s[22:23]
	v_add_f64 v[152:153], v[166:167], v[152:153]
	v_add_f64 v[150:151], v[198:199], -v[150:151]
	v_mul_f64 v[198:199], v[16:17], s[18:19]
	v_add_f64 v[150:151], v[164:165], v[150:151]
	v_add_f64 v[148:149], v[148:149], v[198:199]
	;; [unrolled: 6-line block ×4, first 2 shown]
	v_mul_f64 v[198:199], v[6:7], s[6:7]
	v_add_f64 v[92:93], v[166:167], v[92:93]
	v_add_f64 v[186:187], v[198:199], -v[186:187]
	v_mul_f64 v[198:199], v[16:17], s[2:3]
	v_mul_f64 v[16:17], v[16:17], s[0:1]
	v_add_f64 v[186:187], v[164:165], v[186:187]
	v_add_f64 v[184:185], v[184:185], v[198:199]
	v_mul_f64 v[198:199], v[6:7], s[2:3]
	v_add_f64 v[184:185], v[166:167], v[184:185]
	v_add_f64 v[182:183], v[198:199], -v[182:183]
	v_mul_f64 v[198:199], v[231:232], s[50:51]
	s_waitcnt vmcnt(0)
	v_add_f64 v[16:17], v[158:159], v[16:17]
	s_clause 0x1
	buffer_load_dword v158, off, s[56:59], 0 offset:816
	buffer_load_dword v159, off, s[56:59], 0 offset:820
	v_add_f64 v[182:183], v[164:165], v[182:183]
	v_fma_f64 v[231:232], v[6:7], s[28:29], v[198:199]
	v_fma_f64 v[198:199], v[6:7], s[28:29], -v[198:199]
	v_mul_f64 v[6:7], v[6:7], s[0:1]
	v_add_f64 v[16:17], v[166:167], v[16:17]
	v_add_f64 v[231:232], v[164:165], v[231:232]
	v_add_f64 v[198:199], v[164:165], v[198:199]
	s_waitcnt vmcnt(0)
	v_add_f64 v[6:7], v[6:7], -v[158:159]
	s_clause 0x1
	buffer_load_dword v158, off, s[56:59], 0 offset:624
	buffer_load_dword v159, off, s[56:59], 0 offset:628
	v_add_f64 v[6:7], v[164:165], v[6:7]
	s_waitcnt vmcnt(0)
	v_add_f64 v[166:167], v[166:167], v[158:159]
	s_clause 0x1
	buffer_load_dword v158, off, s[56:59], 0 offset:600
	buffer_load_dword v159, off, s[56:59], 0 offset:604
	s_waitcnt vmcnt(0)
	v_add_f64 v[164:165], v[164:165], v[158:159]
	v_mul_f64 v[158:159], v[12:13], s[12:13]
	v_fma_f64 v[251:252], v[44:45], s[30:31], v[158:159]
	v_fma_f64 v[44:45], v[44:45], s[36:37], v[158:159]
	v_mul_f64 v[158:159], v[245:246], s[18:19]
	buffer_store_dword v251, off, s[56:59], 0 offset:600 ; 4-byte Folded Spill
	buffer_store_dword v252, off, s[56:59], 0 offset:604 ; 4-byte Folded Spill
	;; [unrolled: 1-line block ×6, first 2 shown]
	v_fma_f64 v[178:179], v[18:19], s[46:47], v[158:159]
	v_fma_f64 v[18:19], v[18:19], s[16:17], v[158:159]
	v_mul_f64 v[158:159], v[194:195], s[0:1]
	buffer_store_dword v196, off, s[56:59], 0 offset:1120 ; 4-byte Folded Spill
	buffer_store_dword v197, off, s[56:59], 0 offset:1124 ; 4-byte Folded Spill
	v_mov_b32_e32 v251, v242
	v_mov_b32_e32 v242, v243
	;; [unrolled: 1-line block ×3, first 2 shown]
	buffer_store_dword v176, off, s[56:59], 0 offset:840 ; 4-byte Folded Spill
	buffer_store_dword v177, off, s[56:59], 0 offset:844 ; 4-byte Folded Spill
	v_fma_f64 v[44:45], v[188:189], s[14:15], v[158:159]
	v_fma_f64 v[158:159], v[188:189], s[44:45], v[158:159]
	v_mul_f64 v[188:189], v[219:220], s[24:25]
	v_add_f64 v[44:45], v[44:45], v[162:163]
	v_mul_f64 v[162:163], v[249:250], s[44:45]
	v_add_f64 v[158:159], v[158:159], v[160:161]
	v_mul_f64 v[160:161], v[12:13], s[18:19]
	v_fma_f64 v[249:250], v[192:193], s[0:1], v[162:163]
	v_add_f64 v[142:143], v[142:143], v[160:161]
	v_fma_f64 v[160:161], v[192:193], s[0:1], -v[162:163]
	v_mul_f64 v[162:163], v[247:248], s[38:39]
	v_add_f64 v[231:232], v[249:250], v[231:232]
	v_mul_f64 v[249:250], v[0:1], s[6:7]
	v_add_f64 v[160:161], v[160:161], v[198:199]
	v_mul_f64 v[198:199], v[237:238], s[22:23]
	v_fma_f64 v[196:197], v[213:214], s[26:27], v[249:250]
	v_fma_f64 v[213:214], v[213:214], s[40:41], v[249:250]
	v_mul_f64 v[249:250], v[227:228], s[22:23]
	v_add_f64 v[102:103], v[102:103], v[198:199]
	v_mul_f64 v[198:199], v[194:195], s[6:7]
	v_fma_f64 v[243:244], v[8:9], s[52:53], v[249:250]
	v_fma_f64 v[8:9], v[8:9], s[34:35], v[249:250]
	;; [unrolled: 5-line block ×3, first 2 shown]
	v_fma_f64 v[249:250], v[14:15], s[42:43], v[188:189]
	v_fma_f64 v[14:15], v[14:15], s[38:39], v[188:189]
	v_add_f64 v[98:99], v[98:99], v[198:199]
	v_add_f64 v[96:97], v[96:97], v[156:157]
	v_fma_f64 v[156:157], v[217:218], s[24:25], -v[162:163]
	v_fma_f64 v[188:189], v[217:218], s[24:25], v[162:163]
	v_mul_f64 v[162:163], v[10:11], s[18:19]
	v_add_f64 v[44:45], v[249:250], v[44:45]
	v_add_f64 v[14:15], v[14:15], v[158:159]
	v_mul_f64 v[158:159], v[245:246], s[2:3]
	v_add_f64 v[96:97], v[98:99], v[96:97]
	v_mul_f64 v[98:99], v[215:216], s[48:49]
	v_add_f64 v[156:157], v[156:157], v[160:161]
	v_add_f64 v[188:189], v[188:189], v[231:232]
	v_add_f64 v[162:163], v[162:163], -v[221:222]
	v_add_f64 v[44:45], v[176:177], v[44:45]
	v_add_f64 v[14:15], v[172:173], v[14:15]
	v_mul_f64 v[172:173], v[239:240], s[2:3]
	v_add_f64 v[96:97], v[102:103], v[96:97]
	v_fma_f64 v[160:161], v[233:234], s[2:3], v[98:99]
	v_fma_f64 v[98:99], v[233:234], s[2:3], -v[98:99]
	v_fma_f64 v[102:103], v[225:226], s[22:23], v[20:21]
	v_fma_f64 v[20:21], v[225:226], s[22:23], -v[20:21]
	v_add_f64 v[138:139], v[138:139], v[158:159]
	v_mul_f64 v[158:159], v[0:1], s[28:29]
	v_add_f64 v[44:45], v[243:244], v[44:45]
	v_add_f64 v[8:9], v[8:9], v[14:15]
	v_add_f64 v[100:101], v[172:173], -v[100:101]
	v_mul_f64 v[172:173], v[235:236], s[28:29]
	v_mul_f64 v[14:15], v[225:226], s[0:1]
	v_add_f64 v[98:99], v[98:99], v[156:157]
	v_add_f64 v[160:161], v[160:161], v[188:189]
	v_mov_b32_e32 v244, v252
	v_mov_b32_e32 v243, v242
	v_add_f64 v[136:137], v[136:137], v[158:159]
	v_mul_f64 v[158:159], v[227:228], s[0:1]
	v_mov_b32_e32 v242, v251
	v_add_f64 v[44:45], v[196:197], v[44:45]
	v_add_f64 v[8:9], v[213:214], v[8:9]
	v_add_f64 v[36:37], v[172:173], -v[36:37]
	v_mul_f64 v[172:173], v[192:193], s[6:7]
	v_add_f64 v[20:21], v[20:21], v[98:99]
	v_mul_f64 v[98:99], v[227:228], s[12:13]
	v_add_f64 v[14:15], v[14:15], -v[170:171]
	v_add_f64 v[102:103], v[102:103], v[160:161]
	v_mul_f64 v[160:161], v[245:246], s[0:1]
	v_add_f64 v[158:159], v[223:224], v[158:159]
	v_add_f64 v[8:9], v[18:19], v[8:9]
	v_add_f64 v[168:169], v[172:173], -v[168:169]
	v_mul_f64 v[172:173], v[217:218], s[12:13]
	v_add_f64 v[78:79], v[78:79], v[98:99]
	v_add_f64 v[154:155], v[168:169], v[154:155]
	v_add_f64 v[94:95], v[172:173], -v[94:95]
	v_mul_f64 v[168:169], v[233:234], s[22:23]
	v_add_f64 v[94:95], v[94:95], v[154:155]
	v_mul_f64 v[154:155], v[12:13], s[6:7]
	v_add_f64 v[168:169], v[168:169], -v[200:201]
	v_add_f64 v[90:91], v[90:91], v[154:155]
	v_mul_f64 v[154:155], v[194:195], s[18:19]
	v_add_f64 v[94:95], v[168:169], v[94:95]
	v_add_f64 v[76:77], v[76:77], v[154:155]
	v_mul_f64 v[154:155], v[219:220], s[0:1]
	v_add_f64 v[14:15], v[14:15], v[94:95]
	v_mul_f64 v[94:95], v[229:230], s[40:41]
	v_add_f64 v[76:77], v[76:77], v[152:153]
	v_add_f64 v[82:83], v[82:83], v[154:155]
	v_mul_f64 v[152:153], v[237:238], s[24:25]
	v_add_f64 v[14:15], v[36:37], v[14:15]
	;; [unrolled: 3-line block ×3, first 2 shown]
	v_add_f64 v[88:89], v[88:89], v[152:153]
	v_add_f64 v[82:83], v[158:159], v[96:97]
	v_fma_f64 v[96:97], v[235:236], s[6:7], v[94:95]
	v_mul_f64 v[158:159], v[239:240], s[0:1]
	v_add_f64 v[76:77], v[88:89], v[76:77]
	v_mul_f64 v[88:89], v[0:1], s[2:3]
	v_add_f64 v[82:83], v[136:137], v[82:83]
	v_add_f64 v[96:97], v[96:97], v[102:103]
	v_mul_f64 v[102:103], v[235:236], s[0:1]
	v_add_f64 v[76:77], v[78:79], v[76:77]
	v_mul_f64 v[78:79], v[245:246], s[28:29]
	v_add_f64 v[80:81], v[80:81], v[88:89]
	v_add_f64 v[18:19], v[138:139], v[82:83]
	v_mul_f64 v[88:89], v[225:226], s[24:25]
	v_mul_f64 v[82:83], v[233:234], s[28:29]
	v_add_f64 v[78:79], v[84:85], v[78:79]
	v_mul_f64 v[84:85], v[217:218], s[0:1]
	v_add_f64 v[76:77], v[80:81], v[76:77]
	v_mul_f64 v[80:81], v[10:11], s[6:7]
	v_add_f64 v[70:71], v[84:85], -v[70:71]
	v_mul_f64 v[84:85], v[192:193], s[18:19]
	v_add_f64 v[44:45], v[78:79], v[76:77]
	v_mul_f64 v[76:77], v[233:234], s[24:25]
	v_mul_f64 v[78:79], v[237:238], s[12:13]
	v_add_f64 v[80:81], v[80:81], -v[86:87]
	v_mul_f64 v[86:87], v[227:228], s[18:19]
	v_add_f64 v[64:65], v[84:85], -v[64:65]
	v_fma_f64 v[84:85], v[235:236], s[6:7], -v[94:95]
	v_add_f64 v[66:67], v[76:77], -v[66:67]
	v_add_f64 v[64:65], v[64:65], v[150:151]
	v_add_f64 v[20:21], v[84:85], v[20:21]
	;; [unrolled: 1-line block ×3, first 2 shown]
	v_mul_f64 v[70:71], v[225:226], s[12:13]
	v_add_f64 v[64:65], v[66:67], v[64:65]
	v_add_f64 v[68:69], v[70:71], -v[68:69]
	v_mul_f64 v[66:67], v[235:236], s[2:3]
	v_mul_f64 v[70:71], v[233:234], s[18:19]
	v_add_f64 v[64:65], v[68:69], v[64:65]
	v_add_f64 v[66:67], v[66:67], -v[72:73]
	v_mul_f64 v[68:69], v[239:240], s[28:29]
	v_add_f64 v[64:65], v[66:67], v[64:65]
	v_mul_f64 v[66:67], v[194:195], s[24:25]
	v_add_f64 v[68:69], v[68:69], -v[74:75]
	v_add_f64 v[28:29], v[28:29], v[66:67]
	v_mul_f64 v[66:67], v[219:220], s[2:3]
	v_add_f64 v[64:65], v[68:69], v[64:65]
	v_add_f64 v[28:29], v[28:29], v[148:149]
	;; [unrolled: 1-line block ×3, first 2 shown]
	v_mul_f64 v[66:67], v[237:238], s[6:7]
	v_add_f64 v[28:29], v[56:57], v[28:29]
	v_add_f64 v[60:61], v[60:61], v[66:67]
	v_mul_f64 v[56:57], v[227:228], s[28:29]
	v_add_f64 v[28:29], v[60:61], v[28:29]
	v_mul_f64 v[60:61], v[225:226], s[28:29]
	v_add_f64 v[56:57], v[62:63], v[56:57]
	v_add_f64 v[58:59], v[60:61], -v[58:59]
	v_mul_f64 v[60:61], v[192:193], s[24:25]
	v_add_f64 v[28:29], v[56:57], v[28:29]
	v_add_f64 v[50:51], v[60:61], -v[50:51]
	;; [unrolled: 3-line block ×3, first 2 shown]
	v_mul_f64 v[60:61], v[233:234], s[6:7]
	v_add_f64 v[50:51], v[52:53], v[50:51]
	v_mul_f64 v[52:53], v[194:195], s[28:29]
	v_add_f64 v[54:55], v[60:61], -v[54:55]
	v_mul_f64 v[60:61], v[237:238], s[18:19]
	v_add_f64 v[42:43], v[42:43], v[52:53]
	v_mul_f64 v[52:53], v[219:220], s[18:19]
	v_add_f64 v[60:61], v[206:207], v[60:61]
	v_add_f64 v[50:51], v[54:55], v[50:51]
	v_add_f64 v[42:43], v[42:43], v[144:145]
	v_add_f64 v[46:47], v[46:47], v[52:53]
	v_mul_f64 v[52:53], v[237:238], s[0:1]
	v_add_f64 v[42:43], v[46:47], v[42:43]
	v_mul_f64 v[46:47], v[227:228], s[6:7]
	v_add_f64 v[52:53], v[180:181], v[52:53]
	v_add_f64 v[46:47], v[48:49], v[46:47]
	v_mul_f64 v[48:49], v[192:193], s[28:29]
	v_add_f64 v[42:43], v[52:53], v[42:43]
	v_mul_f64 v[52:53], v[233:234], s[0:1]
	v_add_f64 v[26:27], v[48:49], -v[26:27]
	v_mul_f64 v[48:49], v[217:218], s[18:19]
	v_add_f64 v[52:53], v[52:53], -v[210:211]
	v_add_f64 v[42:43], v[46:47], v[42:43]
	v_add_f64 v[26:27], v[26:27], v[140:141]
	v_add_f64 v[48:49], v[48:49], -v[208:209]
	v_mul_f64 v[140:141], v[235:236], s[12:13]
	v_add_f64 v[26:27], v[48:49], v[26:27]
	v_mul_f64 v[48:49], v[225:226], s[6:7]
	v_add_f64 v[26:27], v[52:53], v[26:27]
	v_add_f64 v[40:41], v[48:49], -v[40:41]
	v_mul_f64 v[48:49], v[194:195], s[22:23]
	v_mul_f64 v[52:53], v[219:220], s[28:29]
	v_add_f64 v[26:27], v[40:41], v[26:27]
	v_add_f64 v[48:49], v[202:203], v[48:49]
	;; [unrolled: 1-line block ×5, first 2 shown]
	v_mul_f64 v[92:93], v[227:228], s[24:25]
	v_add_f64 v[48:49], v[52:53], v[48:49]
	v_mul_f64 v[52:53], v[227:228], s[2:3]
	v_add_f64 v[48:49], v[60:61], v[48:49]
	s_clause 0x3
	buffer_load_dword v60, off, s[56:59], 0 offset:1088
	buffer_load_dword v61, off, s[56:59], 0 offset:1092
	;; [unrolled: 1-line block ×4, first 2 shown]
	v_add_f64 v[22:23], v[22:23], v[52:53]
	v_mul_f64 v[52:53], v[192:193], s[22:23]
	v_add_f64 v[22:23], v[22:23], v[48:49]
	s_waitcnt vmcnt(2)
	v_add_f64 v[52:53], v[52:53], -v[60:61]
	v_mul_f64 v[60:61], v[217:218], s[28:29]
	v_add_f64 v[52:53], v[52:53], v[186:187]
	s_waitcnt vmcnt(0)
	v_add_f64 v[60:61], v[60:61], -v[62:63]
	s_clause 0x5
	buffer_load_dword v62, off, s[56:59], 0 offset:584
	buffer_load_dword v63, off, s[56:59], 0 offset:588
	;; [unrolled: 1-line block ×6, first 2 shown]
	v_add_f64 v[52:53], v[60:61], v[52:53]
	s_clause 0x1
	buffer_load_dword v60, off, s[56:59], 0 offset:616
	buffer_load_dword v61, off, s[56:59], 0 offset:620
	s_waitcnt vmcnt(6)
	v_add_f64 v[62:63], v[166:167], v[62:63]
	s_waitcnt vmcnt(4)
	v_add_f64 v[66:67], v[164:165], v[66:67]
	s_waitcnt vmcnt(2)
	v_add_f64 v[70:71], v[70:71], -v[72:73]
	s_waitcnt vmcnt(0)
	v_add_f64 v[60:61], v[62:63], v[60:61]
	s_clause 0x3
	buffer_load_dword v62, off, s[56:59], 0 offset:608
	buffer_load_dword v63, off, s[56:59], 0 offset:612
	;; [unrolled: 1-line block ×4, first 2 shown]
	v_add_f64 v[52:53], v[70:71], v[52:53]
	s_clause 0x1
	buffer_load_dword v70, off, s[56:59], 0 offset:640
	buffer_load_dword v71, off, s[56:59], 0 offset:644
	s_waitcnt vmcnt(4)
	v_add_f64 v[62:63], v[66:67], v[62:63]
	v_mul_f64 v[66:67], v[225:226], s[2:3]
	s_waitcnt vmcnt(0)
	v_add_f64 v[60:61], v[60:61], v[70:71]
	s_clause 0x1
	buffer_load_dword v70, off, s[56:59], 0 offset:632
	buffer_load_dword v71, off, s[56:59], 0 offset:636
	v_add_f64 v[66:67], v[66:67], -v[72:73]
	s_clause 0x1
	buffer_load_dword v72, off, s[56:59], 0 offset:1080
	buffer_load_dword v73, off, s[56:59], 0 offset:1084
	v_add_f64 v[52:53], v[66:67], v[52:53]
	s_waitcnt vmcnt(2)
	v_add_f64 v[62:63], v[62:63], v[70:71]
	v_mul_f64 v[70:71], v[219:220], s[22:23]
	s_waitcnt vmcnt(0)
	v_add_f64 v[70:71], v[72:73], v[70:71]
	s_clause 0x1
	buffer_load_dword v72, off, s[56:59], 0 offset:688
	buffer_load_dword v73, off, s[56:59], 0 offset:692
	s_waitcnt vmcnt(0)
	v_add_f64 v[60:61], v[60:61], v[72:73]
	s_clause 0x3
	buffer_load_dword v72, off, s[56:59], 0 offset:680
	buffer_load_dword v73, off, s[56:59], 0 offset:684
	;; [unrolled: 1-line block ×4, first 2 shown]
	s_waitcnt vmcnt(2)
	v_add_f64 v[62:63], v[62:63], v[72:73]
	v_mul_f64 v[72:73], v[194:195], s[12:13]
	s_waitcnt vmcnt(0)
	v_add_f64 v[72:73], v[74:75], v[72:73]
	s_clause 0x1
	buffer_load_dword v74, off, s[56:59], 0 offset:752
	buffer_load_dword v75, off, s[56:59], 0 offset:756
	v_add_f64 v[72:73], v[72:73], v[184:185]
	v_add_f64 v[70:71], v[70:71], v[72:73]
	v_mul_f64 v[72:73], v[0:1], s[24:25]
	s_waitcnt vmcnt(0)
	v_add_f64 v[60:61], v[60:61], v[74:75]
	s_clause 0x3
	buffer_load_dword v74, off, s[56:59], 0 offset:744
	buffer_load_dword v75, off, s[56:59], 0 offset:748
	;; [unrolled: 1-line block ×4, first 2 shown]
	v_add_f64 v[4:5], v[60:61], v[4:5]
	v_mul_f64 v[60:61], v[194:195], s[2:3]
	v_add_f64 v[4:5], v[4:5], v[38:39]
	v_add_f64 v[4:5], v[4:5], v[34:35]
	v_mul_f64 v[34:35], v[217:218], s[22:23]
	v_add_f64 v[4:5], v[4:5], v[253:254]
	s_waitcnt vmcnt(2)
	v_add_f64 v[62:63], v[62:63], v[74:75]
	v_mul_f64 v[74:75], v[192:193], s[12:13]
	v_add_f64 v[2:3], v[62:63], v[2:3]
	s_clause 0x25
	buffer_load_dword v62, off, s[56:59], 0 offset:672
	buffer_load_dword v63, off, s[56:59], 0 offset:676
	;; [unrolled: 1-line block ×38, first 2 shown]
	s_waitcnt vmcnt(38)
	v_add_f64 v[74:75], v[74:75], -v[76:77]
	v_mul_f64 v[76:77], v[233:234], s[12:13]
	v_add_f64 v[2:3], v[2:3], v[32:33]
	v_mul_f64 v[32:33], v[192:193], s[2:3]
	v_add_f64 v[74:75], v[74:75], v[182:183]
	v_add_f64 v[2:3], v[2:3], v[30:31]
	v_mul_f64 v[30:31], v[237:238], s[28:29]
	s_waitcnt vmcnt(36)
	v_add_f64 v[60:61], v[62:63], v[60:61]
	s_waitcnt vmcnt(34)
	v_add_f64 v[32:33], v[32:33], -v[38:39]
	v_mul_f64 v[38:39], v[219:220], s[6:7]
	v_mul_f64 v[62:63], v[217:218], s[6:7]
	s_waitcnt vmcnt(32)
	v_add_f64 v[34:35], v[34:35], -v[84:85]
	s_waitcnt vmcnt(26)
	v_add_f64 v[2:3], v[2:3], v[136:137]
	v_mul_f64 v[136:137], v[0:1], s[0:1]
	s_waitcnt vmcnt(24)
	v_add_f64 v[30:31], v[138:139], v[30:31]
	s_waitcnt vmcnt(20)
	v_add_f64 v[78:79], v[146:147], v[78:79]
	v_mul_f64 v[138:139], v[235:236], s[24:25]
	s_waitcnt vmcnt(16)
	v_add_f64 v[4:5], v[4:5], v[150:151]
	v_mul_f64 v[84:85], v[225:226], s[18:19]
	s_waitcnt vmcnt(12)
	v_add_f64 v[92:93], v[156:157], v[92:93]
	s_waitcnt vmcnt(10)
	v_add_f64 v[88:89], v[88:89], -v[164:165]
	s_waitcnt vmcnt(8)
	v_add_f64 v[86:87], v[166:167], v[86:87]
	v_mul_f64 v[164:165], v[12:13], s[28:29]
	v_mul_f64 v[166:167], v[12:13], s[0:1]
	v_add_f64 v[82:83], v[82:83], -v[144:145]
	v_add_f64 v[76:77], v[76:77], -v[148:149]
	v_mul_f64 v[144:145], v[239:240], s[24:25]
	v_mul_f64 v[146:147], v[239:240], s[6:7]
	;; [unrolled: 1-line block ×3, first 2 shown]
	v_add_f64 v[16:17], v[60:61], v[16:17]
	v_mul_f64 v[60:61], v[0:1], s[22:23]
	v_add_f64 v[6:7], v[32:33], v[6:7]
	v_mul_f64 v[32:33], v[0:1], s[18:19]
	v_mul_f64 v[0:1], v[0:1], s[12:13]
	v_add_f64 v[38:39], v[94:95], v[38:39]
	v_add_f64 v[62:63], v[62:63], -v[98:99]
	v_add_f64 v[30:31], v[30:31], v[70:71]
	v_mul_f64 v[98:99], v[235:236], s[18:19]
	v_mul_f64 v[94:95], v[235:236], s[22:23]
	s_waitcnt vmcnt(4)
	v_add_f64 v[4:5], v[4:5], v[170:171]
	v_add_f64 v[34:35], v[34:35], v[74:75]
	v_mul_f64 v[74:75], v[245:246], s[24:25]
	v_add_f64 v[84:85], v[84:85], -v[168:169]
	v_mul_f64 v[168:169], v[12:13], s[24:25]
	v_mul_f64 v[170:171], v[12:13], s[2:3]
	;; [unrolled: 1-line block ×3, first 2 shown]
	v_add_f64 v[2:3], v[2:3], v[152:153]
	v_mul_f64 v[70:71], v[10:11], s[28:29]
	v_mul_f64 v[152:153], v[245:246], s[22:23]
	;; [unrolled: 1-line block ×3, first 2 shown]
	v_fma_f64 v[156:157], v[239:240], s[18:19], v[24:25]
	v_fma_f64 v[24:25], v[239:240], s[18:19], -v[24:25]
	s_waitcnt vmcnt(0)
	v_add_f64 v[0:1], v[54:55], v[0:1]
	s_clause 0x5
	buffer_load_dword v54, off, s[56:59], 0 offset:1064
	buffer_load_dword v55, off, s[56:59], 0 offset:1068
	;; [unrolled: 1-line block ×6, first 2 shown]
	v_add_f64 v[30:31], v[92:93], v[30:31]
	v_add_f64 v[16:17], v[38:39], v[16:17]
	;; [unrolled: 1-line block ×3, first 2 shown]
	v_mul_f64 v[62:63], v[245:246], s[12:13]
	v_mul_f64 v[38:39], v[245:246], s[6:7]
	v_add_f64 v[34:35], v[82:83], v[34:35]
	v_mul_f64 v[82:83], v[10:11], s[0:1]
	v_add_f64 v[2:3], v[2:3], v[172:173]
	v_fma_f64 v[172:173], v[10:11], s[12:13], v[154:155]
	v_fma_f64 v[154:155], v[10:11], s[12:13], -v[154:155]
	v_add_f64 v[68:69], v[24:25], v[20:21]
	v_add_f64 v[0:1], v[0:1], v[28:29]
	;; [unrolled: 1-line block ×3, first 2 shown]
	v_mul_f64 v[78:79], v[10:11], s[24:25]
	v_add_f64 v[6:7], v[76:77], v[6:7]
	v_mul_f64 v[76:77], v[10:11], s[2:3]
	v_mul_f64 v[10:11], v[10:11], s[22:23]
	v_add_f64 v[34:35], v[88:89], v[34:35]
	v_add_f64 v[16:17], v[86:87], v[16:17]
	;; [unrolled: 1-line block ×3, first 2 shown]
	s_waitcnt vmcnt(4)
	v_add_f64 v[54:55], v[140:141], -v[54:55]
	s_waitcnt vmcnt(2)
	v_add_f64 v[56:57], v[56:57], v[72:73]
	s_clause 0x3
	buffer_load_dword v72, off, s[56:59], 0 offset:928
	buffer_load_dword v73, off, s[56:59], 0 offset:932
	;; [unrolled: 1-line block ×4, first 2 shown]
	s_waitcnt vmcnt(4)
	v_add_f64 v[46:47], v[138:139], -v[46:47]
	v_add_f64 v[40:41], v[54:55], v[40:41]
	v_add_f64 v[42:43], v[56:57], v[42:43]
	;; [unrolled: 1-line block ×3, first 2 shown]
	s_waitcnt vmcnt(2)
	v_add_f64 v[72:73], v[72:73], v[136:137]
	s_waitcnt vmcnt(0)
	v_add_f64 v[48:49], v[102:103], -v[48:49]
	s_clause 0x3
	buffer_load_dword v102, off, s[56:59], 0 offset:872
	buffer_load_dword v103, off, s[56:59], 0 offset:876
	;; [unrolled: 1-line block ×4, first 2 shown]
	v_add_f64 v[22:23], v[72:73], v[22:23]
	v_add_f64 v[48:49], v[48:49], v[52:53]
	s_waitcnt vmcnt(2)
	v_add_f64 v[32:33], v[102:103], v[32:33]
	s_waitcnt vmcnt(0)
	v_add_f64 v[92:93], v[98:99], -v[92:93]
	s_clause 0x3
	buffer_load_dword v98, off, s[56:59], 0 offset:768
	buffer_load_dword v99, off, s[56:59], 0 offset:772
	;; [unrolled: 1-line block ×4, first 2 shown]
	v_add_f64 v[30:31], v[32:33], v[30:31]
	v_add_f64 v[34:35], v[92:93], v[34:35]
	s_waitcnt vmcnt(2)
	v_add_f64 v[60:61], v[98:99], v[60:61]
	s_waitcnt vmcnt(0)
	v_add_f64 v[86:87], v[94:95], -v[86:87]
	s_clause 0x1
	buffer_load_dword v94, off, s[56:59], 0 offset:560
	buffer_load_dword v95, off, s[56:59], 0 offset:564
	v_add_f64 v[16:17], v[60:61], v[16:17]
	v_add_f64 v[6:7], v[86:87], v[6:7]
	s_waitcnt vmcnt(0)
	v_add_f64 v[4:5], v[4:5], v[94:95]
	s_clause 0xb
	buffer_load_dword v94, off, s[56:59], 0 offset:552
	buffer_load_dword v95, off, s[56:59], 0 offset:556
	;; [unrolled: 1-line block ×12, first 2 shown]
	s_waitcnt vmcnt(10)
	v_add_f64 v[2:3], v[2:3], v[94:95]
	s_waitcnt vmcnt(8)
	v_add_f64 v[50:51], v[50:51], v[160:161]
	s_waitcnt vmcnt(6)
	v_add_f64 v[28:29], v[158:159], -v[28:29]
	s_waitcnt vmcnt(4)
	v_add_f64 v[58:59], v[58:59], v[152:153]
	s_waitcnt vmcnt(2)
	v_add_f64 v[56:57], v[150:151], -v[56:57]
	s_waitcnt vmcnt(0)
	v_add_f64 v[62:63], v[66:67], v[62:63]
	s_clause 0x5
	buffer_load_dword v66, off, s[56:59], 0 offset:896
	buffer_load_dword v67, off, s[56:59], 0 offset:900
	;; [unrolled: 1-line block ×6, first 2 shown]
	v_add_f64 v[0:1], v[50:51], v[0:1]
	v_add_f64 v[40:41], v[28:29], v[40:41]
	v_add_f64 v[42:43], v[58:59], v[42:43]
	v_add_f64 v[56:57], v[56:57], v[26:27]
	v_add_f64 v[58:59], v[62:63], v[22:23]
	s_waitcnt vmcnt(4)
	v_add_f64 v[66:67], v[148:149], -v[66:67]
	s_waitcnt vmcnt(2)
	v_add_f64 v[38:39], v[72:73], v[38:39]
	s_clause 0x3
	buffer_load_dword v72, off, s[56:59], 0 offset:808
	buffer_load_dword v73, off, s[56:59], 0 offset:812
	buffer_load_dword v60, off, s[56:59], 0 offset:800
	buffer_load_dword v61, off, s[56:59], 0 offset:804
	s_waitcnt vmcnt(4)
	v_add_f64 v[32:33], v[146:147], -v[32:33]
	v_add_f64 v[48:49], v[66:67], v[48:49]
	v_add_f64 v[30:31], v[38:39], v[30:31]
	;; [unrolled: 1-line block ×4, first 2 shown]
	s_waitcnt vmcnt(2)
	v_add_f64 v[72:73], v[72:73], v[74:75]
	s_clause 0x1
	buffer_load_dword v74, off, s[56:59], 0 offset:544
	buffer_load_dword v75, off, s[56:59], 0 offset:548
	s_waitcnt vmcnt(2)
	v_add_f64 v[60:61], v[144:145], -v[60:61]
	v_add_f64 v[16:17], v[72:73], v[16:17]
	v_add_f64 v[60:61], v[60:61], v[6:7]
	s_waitcnt vmcnt(0)
	v_add_f64 v[4:5], v[4:5], v[74:75]
	s_clause 0x3
	buffer_load_dword v74, off, s[56:59], 0 offset:1120
	buffer_load_dword v75, off, s[56:59], 0 offset:1124
	;; [unrolled: 1-line block ×4, first 2 shown]
	s_waitcnt vmcnt(2)
	v_add_f64 v[2:3], v[2:3], v[74:75]
	s_waitcnt vmcnt(0)
	v_add_f64 v[12:13], v[46:47], v[12:13]
	s_clause 0x1
	buffer_load_dword v46, off, s[56:59], 0 offset:1016
	buffer_load_dword v47, off, s[56:59], 0 offset:1020
	s_waitcnt vmcnt(0)
	v_add_f64 v[46:47], v[10:11], -v[46:47]
	s_clause 0x1
	buffer_load_dword v10, off, s[56:59], 0 offset:952
	buffer_load_dword v11, off, s[56:59], 0 offset:956
	s_waitcnt vmcnt(0)
	v_add_f64 v[50:51], v[10:11], v[170:171]
	s_clause 0x1
	buffer_load_dword v10, off, s[56:59], 0 offset:944
	buffer_load_dword v11, off, s[56:59], 0 offset:948
	v_add_f64 v[22:23], v[50:51], v[42:43]
	s_waitcnt vmcnt(0)
	v_add_f64 v[52:53], v[76:77], -v[10:11]
	s_clause 0x1
	buffer_load_dword v10, off, s[56:59], 0 offset:888
	buffer_load_dword v11, off, s[56:59], 0 offset:892
	v_add_f64 v[20:21], v[52:53], v[56:57]
	s_waitcnt vmcnt(0)
	v_add_f64 v[54:55], v[10:11], v[168:169]
	s_clause 0x1
	buffer_load_dword v10, off, s[56:59], 0 offset:880
	buffer_load_dword v11, off, s[56:59], 0 offset:884
	v_add_f64 v[26:27], v[54:55], v[58:59]
	s_waitcnt vmcnt(0)
	v_add_f64 v[62:63], v[78:79], -v[10:11]
	s_clause 0x1
	buffer_load_dword v10, off, s[56:59], 0 offset:832
	buffer_load_dword v11, off, s[56:59], 0 offset:836
	v_add_f64 v[78:79], v[32:33], v[34:35]
	v_add_f64 v[24:25], v[62:63], v[48:49]
	s_waitcnt vmcnt(0)
	v_add_f64 v[74:75], v[10:11], v[166:167]
	s_clause 0x1
	buffer_load_dword v10, off, s[56:59], 0 offset:824
	buffer_load_dword v11, off, s[56:59], 0 offset:828
	v_add_f64 v[30:31], v[74:75], v[30:31]
	s_waitcnt vmcnt(0)
	v_add_f64 v[76:77], v[82:83], -v[10:11]
	s_clause 0x1
	buffer_load_dword v10, off, s[56:59], 0 offset:792
	buffer_load_dword v11, off, s[56:59], 0 offset:796
	v_add_f64 v[82:83], v[156:157], v[96:97]
	v_add_f64 v[28:29], v[76:77], v[78:79]
	s_waitcnt vmcnt(0)
	v_add_f64 v[38:39], v[10:11], v[164:165]
	s_clause 0x1
	buffer_load_dword v10, off, s[56:59], 0 offset:784
	buffer_load_dword v11, off, s[56:59], 0 offset:788
	v_add_f64 v[34:35], v[38:39], v[16:17]
	v_add_f64 v[16:17], v[46:47], v[40:41]
	s_waitcnt vmcnt(0)
	v_add_f64 v[70:71], v[70:71], -v[10:11]
	s_clause 0x1
	buffer_load_dword v10, off, s[56:59], 0 offset:816
	buffer_load_dword v11, off, s[56:59], 0 offset:820
	v_add_f64 v[32:33], v[70:71], v[60:61]
	s_waitcnt vmcnt(0)
	v_add_f64 v[4:5], v[4:5], v[10:11]
	s_clause 0x1
	buffer_load_dword v10, off, s[56:59], 0 offset:840
	buffer_load_dword v11, off, s[56:59], 0 offset:844
	s_waitcnt vmcnt(0)
	v_add_f64 v[72:73], v[2:3], v[10:11]
	s_clause 0x3
	buffer_load_dword v2, off, s[56:59], 0 offset:600
	buffer_load_dword v3, off, s[56:59], 0 offset:604
	;; [unrolled: 1-line block ×4, first 2 shown]
	v_add_f64 v[10:11], v[142:143], v[18:19]
	v_add_f64 v[18:19], v[12:13], v[0:1]
	s_clause 0x1
	buffer_load_dword v0, off, s[56:59], 0 offset:536
	buffer_load_dword v1, off, s[56:59], 0 offset:540
	v_add_f64 v[12:13], v[80:81], v[64:65]
	s_waitcnt vmcnt(4)
	v_add_f64 v[2:3], v[2:3], v[36:37]
	s_waitcnt vmcnt(2)
	v_add_f64 v[6:7], v[6:7], v[8:9]
	v_add_f64 v[8:9], v[162:163], v[66:67]
	s_waitcnt vmcnt(0)
	v_add_f64 v[38:39], v[4:5], v[0:1]
	s_clause 0x1
	buffer_load_dword v0, off, s[56:59], 0 offset:528
	buffer_load_dword v1, off, s[56:59], 0 offset:532
	v_add_f64 v[4:5], v[154:155], v[68:69]
	s_waitcnt vmcnt(0)
	v_add_f64 v[36:37], v[72:73], v[0:1]
	v_add_f64 v[0:1], v[172:173], v[82:83]
	ds_write_b128 v255, v[36:39]
	ds_write_b128 v255, v[32:35] offset:800
	ds_write_b128 v255, v[28:31] offset:1600
	;; [unrolled: 1-line block ×9, first 2 shown]
	s_clause 0x3
	buffer_load_dword v0, off, s[56:59], 0 offset:48
	buffer_load_dword v1, off, s[56:59], 0 offset:52
	buffer_load_dword v2, off, s[56:59], 0 offset:56
	buffer_load_dword v3, off, s[56:59], 0 offset:60
	s_waitcnt vmcnt(0)
	ds_write_b128 v255, v[0:3] offset:8000
	s_clause 0x3
	buffer_load_dword v0, off, s[56:59], 0 offset:16
	buffer_load_dword v1, off, s[56:59], 0 offset:20
	buffer_load_dword v2, off, s[56:59], 0 offset:24
	buffer_load_dword v3, off, s[56:59], 0 offset:28
	s_waitcnt vmcnt(0)
	ds_write_b128 v255, v[0:3] offset:8800
	;; [unrolled: 7-line block ×3, first 2 shown]
	s_clause 0x3
	buffer_load_dword v0, off, s[56:59], 0
	buffer_load_dword v1, off, s[56:59], 0 offset:4
	buffer_load_dword v2, off, s[56:59], 0 offset:8
	buffer_load_dword v3, off, s[56:59], 0 offset:12
	s_waitcnt vmcnt(0)
	ds_write_b128 v255, v[0:3] offset:10400
	s_clause 0x3
	buffer_load_dword v0, off, s[56:59], 0 offset:80
	buffer_load_dword v1, off, s[56:59], 0 offset:84
	buffer_load_dword v2, off, s[56:59], 0 offset:88
	buffer_load_dword v3, off, s[56:59], 0 offset:92
	s_waitcnt vmcnt(0)
	ds_write_b128 v255, v[0:3] offset:11200
	s_clause 0x3
	buffer_load_dword v0, off, s[56:59], 0 offset:96
	;; [unrolled: 7-line block ×3, first 2 shown]
	buffer_load_dword v1, off, s[56:59], 0 offset:68
	buffer_load_dword v2, off, s[56:59], 0 offset:72
	;; [unrolled: 1-line block ×3, first 2 shown]
	s_waitcnt vmcnt(0)
	ds_write_b128 v255, v[0:3] offset:12800
.LBB0_5:
	s_or_b32 exec_lo, exec_lo, s33
	v_add_co_u32 v12, s0, 0x3520, v204
	v_add_co_ci_u32_e64 v13, s0, 0, v205, s0
	v_add_co_u32 v4, s0, 0x3000, v204
	v_add_co_ci_u32_e64 v5, s0, 0, v205, s0
	s_waitcnt lgkmcnt(0)
	s_waitcnt_vscnt null, 0x0
	s_barrier
	buffer_gl0_inv
	global_load_dwordx4 v[4:7], v[4:5], off offset:1312
	ds_read_b128 v[0:3], v255
	s_mov_b32 s12, 0x134454ff
	s_mov_b32 s13, 0xbfee6f0e
	s_mov_b32 s7, 0x3fee6f0e
	s_mov_b32 s6, s12
	s_mov_b32 s2, 0x4755a5e
	s_mov_b32 s3, 0xbfe2cf23
	s_mov_b32 s15, 0x3fe2cf23
	s_mov_b32 s14, s2
	s_mov_b32 s16, 0x9b97f4a8
	s_mov_b32 s17, 0x3fe9e377
	s_mov_b32 s19, 0xbfd3c6ef
	s_mov_b32 s21, 0xbfe9e377
	s_mov_b32 s20, s16
	s_waitcnt vmcnt(0) lgkmcnt(0)
	v_mul_f64 v[8:9], v[2:3], v[6:7]
	v_fma_f64 v[8:9], v[0:1], v[4:5], -v[8:9]
	v_mul_f64 v[0:1], v[0:1], v[6:7]
	v_fma_f64 v[10:11], v[2:3], v[4:5], v[0:1]
	global_load_dwordx4 v[4:7], v[12:13], off offset:1360
	ds_read_b128 v[0:3], v255 offset:1360
	ds_write_b128 v255, v[8:11]
	s_waitcnt vmcnt(0) lgkmcnt(1)
	v_mul_f64 v[8:9], v[2:3], v[6:7]
	v_fma_f64 v[8:9], v[0:1], v[4:5], -v[8:9]
	v_mul_f64 v[0:1], v[0:1], v[6:7]
	v_fma_f64 v[10:11], v[2:3], v[4:5], v[0:1]
	v_add_co_u32 v4, s0, 0x3800, v204
	v_add_co_ci_u32_e64 v5, s0, 0, v205, s0
	ds_read_b128 v[0:3], v255 offset:2720
	global_load_dwordx4 v[4:7], v[4:5], off offset:1984
	ds_write_b128 v255, v[8:11] offset:1360
	s_waitcnt vmcnt(0) lgkmcnt(1)
	v_mul_f64 v[8:9], v[2:3], v[6:7]
	v_fma_f64 v[8:9], v[0:1], v[4:5], -v[8:9]
	v_mul_f64 v[0:1], v[0:1], v[6:7]
	v_fma_f64 v[10:11], v[2:3], v[4:5], v[0:1]
	v_add_co_u32 v4, s0, 0x4000, v204
	v_add_co_ci_u32_e64 v5, s0, 0, v205, s0
	ds_read_b128 v[0:3], v255 offset:4080
	v_add_co_u32 v12, s0, 0x4800, v204
	global_load_dwordx4 v[4:7], v[4:5], off offset:1296
	v_add_co_ci_u32_e64 v13, s0, 0, v205, s0
	ds_write_b128 v255, v[8:11] offset:2720
	s_waitcnt vmcnt(0) lgkmcnt(1)
	v_mul_f64 v[8:9], v[2:3], v[6:7]
	v_fma_f64 v[8:9], v[0:1], v[4:5], -v[8:9]
	v_mul_f64 v[0:1], v[0:1], v[6:7]
	v_fma_f64 v[10:11], v[2:3], v[4:5], v[0:1]
	global_load_dwordx4 v[4:7], v[12:13], off offset:608
	ds_read_b128 v[0:3], v255 offset:5440
	ds_write_b128 v255, v[8:11] offset:4080
	s_waitcnt vmcnt(0) lgkmcnt(1)
	v_mul_f64 v[8:9], v[2:3], v[6:7]
	v_fma_f64 v[8:9], v[0:1], v[4:5], -v[8:9]
	v_mul_f64 v[0:1], v[0:1], v[6:7]
	v_fma_f64 v[10:11], v[2:3], v[4:5], v[0:1]
	global_load_dwordx4 v[4:7], v[12:13], off offset:1968
	ds_read_b128 v[0:3], v255 offset:6800
	ds_write_b128 v255, v[8:11] offset:5440
	s_waitcnt vmcnt(0) lgkmcnt(1)
	v_mul_f64 v[8:9], v[2:3], v[6:7]
	v_fma_f64 v[8:9], v[0:1], v[4:5], -v[8:9]
	v_mul_f64 v[0:1], v[0:1], v[6:7]
	v_fma_f64 v[10:11], v[2:3], v[4:5], v[0:1]
	v_add_co_u32 v4, s0, 0x5000, v204
	v_add_co_ci_u32_e64 v5, s0, 0, v205, s0
	ds_read_b128 v[0:3], v255 offset:8160
	v_add_co_u32 v12, s0, 0x5800, v204
	global_load_dwordx4 v[4:7], v[4:5], off offset:1280
	v_add_co_ci_u32_e64 v13, s0, 0, v205, s0
	ds_write_b128 v255, v[8:11] offset:6800
	s_waitcnt vmcnt(0) lgkmcnt(1)
	v_mul_f64 v[8:9], v[2:3], v[6:7]
	v_fma_f64 v[8:9], v[0:1], v[4:5], -v[8:9]
	v_mul_f64 v[0:1], v[0:1], v[6:7]
	v_fma_f64 v[10:11], v[2:3], v[4:5], v[0:1]
	global_load_dwordx4 v[4:7], v[12:13], off offset:592
	ds_read_b128 v[0:3], v255 offset:9520
	ds_write_b128 v255, v[8:11] offset:8160
	s_waitcnt vmcnt(0) lgkmcnt(1)
	v_mul_f64 v[8:9], v[2:3], v[6:7]
	v_fma_f64 v[8:9], v[0:1], v[4:5], -v[8:9]
	v_mul_f64 v[0:1], v[0:1], v[6:7]
	v_fma_f64 v[10:11], v[2:3], v[4:5], v[0:1]
	global_load_dwordx4 v[4:7], v[12:13], off offset:1952
	ds_read_b128 v[0:3], v255 offset:10880
	ds_write_b128 v255, v[8:11] offset:9520
	s_waitcnt vmcnt(0) lgkmcnt(1)
	v_mul_f64 v[8:9], v[2:3], v[6:7]
	v_fma_f64 v[8:9], v[0:1], v[4:5], -v[8:9]
	v_mul_f64 v[0:1], v[0:1], v[6:7]
	v_fma_f64 v[10:11], v[2:3], v[4:5], v[0:1]
	v_add_co_u32 v4, s0, 0x6000, v204
	v_add_co_ci_u32_e64 v5, s0, 0, v205, s0
	ds_read_b128 v[0:3], v255 offset:12240
	s_mov_b32 s0, 0x372fe950
	s_mov_b32 s1, 0x3fd3c6ef
	global_load_dwordx4 v[4:7], v[4:5], off offset:1264
	s_mov_b32 s18, s0
	ds_write_b128 v255, v[8:11] offset:10880
	s_waitcnt vmcnt(0) lgkmcnt(1)
	v_mul_f64 v[8:9], v[2:3], v[6:7]
	v_fma_f64 v[8:9], v[0:1], v[4:5], -v[8:9]
	v_mul_f64 v[0:1], v[0:1], v[6:7]
	v_fma_f64 v[10:11], v[2:3], v[4:5], v[0:1]
	ds_write_b128 v255, v[8:11] offset:12240
	s_waitcnt lgkmcnt(0)
	s_barrier
	buffer_gl0_inv
	ds_read_b128 v[4:7], v255
	ds_read_b128 v[164:167], v255 offset:1360
	ds_read_b128 v[20:23], v255 offset:2720
	;; [unrolled: 1-line block ×9, first 2 shown]
	s_waitcnt lgkmcnt(0)
	s_barrier
	buffer_gl0_inv
	v_add_f64 v[0:1], v[4:5], v[20:21]
	v_add_f64 v[14:15], v[20:21], -v[24:25]
	v_add_f64 v[2:3], v[24:25], v[28:29]
	v_add_f64 v[12:13], v[26:27], -v[30:31]
	v_add_f64 v[8:9], v[22:23], -v[42:43]
	;; [unrolled: 1-line block ×5, first 2 shown]
	v_add_f64 v[0:1], v[0:1], v[24:25]
	v_fma_f64 v[2:3], v[2:3], -0.5, v[4:5]
	v_add_f64 v[14:15], v[14:15], v[16:17]
	v_add_f64 v[16:17], v[24:25], -v[20:21]
	v_add_f64 v[0:1], v[0:1], v[28:29]
	v_fma_f64 v[10:11], v[8:9], s[12:13], v[2:3]
	v_fma_f64 v[2:3], v[8:9], s[6:7], v[2:3]
	v_add_f64 v[18:19], v[16:17], v[18:19]
	v_add_f64 v[0:1], v[0:1], v[40:41]
	v_fma_f64 v[10:11], v[12:13], s[2:3], v[10:11]
	v_fma_f64 v[2:3], v[12:13], s[14:15], v[2:3]
	;; [unrolled: 1-line block ×4, first 2 shown]
	v_add_f64 v[2:3], v[20:21], v[40:41]
	v_fma_f64 v[2:3], v[2:3], -0.5, v[4:5]
	v_fma_f64 v[4:5], v[12:13], s[6:7], v[2:3]
	v_fma_f64 v[2:3], v[12:13], s[12:13], v[2:3]
	;; [unrolled: 1-line block ×4, first 2 shown]
	v_add_f64 v[8:9], v[20:21], -v[40:41]
	v_add_f64 v[20:21], v[24:25], -v[28:29]
	;; [unrolled: 1-line block ×5, first 2 shown]
	v_fma_f64 v[16:17], v[18:19], s[0:1], v[4:5]
	v_fma_f64 v[18:19], v[18:19], s[0:1], v[2:3]
	v_add_f64 v[2:3], v[6:7], v[22:23]
	v_add_f64 v[24:25], v[24:25], v[28:29]
	v_add_f64 v[28:29], v[168:169], -v[32:33]
	v_add_f64 v[2:3], v[2:3], v[26:27]
	v_add_f64 v[2:3], v[2:3], v[30:31]
	;; [unrolled: 1-line block ×4, first 2 shown]
	v_fma_f64 v[2:3], v[2:3], -0.5, v[6:7]
	v_fma_f64 v[4:5], v[8:9], s[6:7], v[2:3]
	v_fma_f64 v[2:3], v[8:9], s[12:13], v[2:3]
	;; [unrolled: 1-line block ×6, first 2 shown]
	v_add_f64 v[24:25], v[22:23], v[42:43]
	v_add_f64 v[22:23], v[26:27], -v[22:23]
	v_add_f64 v[26:27], v[30:31], -v[42:43]
	;; [unrolled: 1-line block ×4, first 2 shown]
	v_fma_f64 v[24:25], v[24:25], -0.5, v[6:7]
	v_add_f64 v[22:23], v[22:23], v[26:27]
	v_add_f64 v[26:27], v[170:171], -v[46:47]
	v_add_f64 v[28:29], v[28:29], v[30:31]
	v_add_f64 v[42:43], v[42:43], v[48:49]
	v_add_f64 v[48:49], v[46:47], -v[38:39]
	v_fma_f64 v[6:7], v[20:21], s[12:13], v[24:25]
	v_fma_f64 v[20:21], v[20:21], s[6:7], v[24:25]
	;; [unrolled: 1-line block ×4, first 2 shown]
	v_add_f64 v[20:21], v[164:165], v[168:169]
	v_fma_f64 v[6:7], v[22:23], s[0:1], v[6:7]
	v_fma_f64 v[8:9], v[22:23], s[0:1], v[8:9]
	v_add_f64 v[22:23], v[32:33], v[36:37]
	v_add_f64 v[20:21], v[20:21], v[32:33]
	v_fma_f64 v[22:23], v[22:23], -0.5, v[164:165]
	v_add_f64 v[20:21], v[20:21], v[36:37]
	v_add_f64 v[36:37], v[32:33], -v[36:37]
	v_fma_f64 v[24:25], v[26:27], s[12:13], v[22:23]
	v_fma_f64 v[22:23], v[26:27], s[6:7], v[22:23]
	v_add_f64 v[20:21], v[20:21], v[44:45]
	v_fma_f64 v[24:25], v[40:41], s[2:3], v[24:25]
	v_fma_f64 v[22:23], v[40:41], s[14:15], v[22:23]
	;; [unrolled: 1-line block ×4, first 2 shown]
	v_add_f64 v[22:23], v[168:169], v[44:45]
	v_fma_f64 v[22:23], v[22:23], -0.5, v[164:165]
	v_add_f64 v[164:165], v[0:1], v[20:21]
	v_add_f64 v[20:21], v[0:1], -v[20:21]
	v_fma_f64 v[28:29], v[40:41], s[6:7], v[22:23]
	v_fma_f64 v[22:23], v[40:41], s[12:13], v[22:23]
	v_add_f64 v[40:41], v[34:35], v[38:39]
	v_fma_f64 v[28:29], v[26:27], s[2:3], v[28:29]
	v_fma_f64 v[22:23], v[26:27], s[14:15], v[22:23]
	v_fma_f64 v[40:41], v[40:41], -0.5, v[166:167]
	v_fma_f64 v[28:29], v[42:43], s[0:1], v[28:29]
	v_fma_f64 v[26:27], v[42:43], s[0:1], v[22:23]
	v_add_f64 v[42:43], v[168:169], -v[44:45]
	v_add_f64 v[22:23], v[166:167], v[170:171]
	v_fma_f64 v[44:45], v[42:43], s[6:7], v[40:41]
	v_add_f64 v[22:23], v[22:23], v[34:35]
	v_fma_f64 v[32:33], v[36:37], s[14:15], v[44:45]
	v_add_f64 v[44:45], v[170:171], -v[34:35]
	v_add_f64 v[22:23], v[22:23], v[38:39]
	v_add_f64 v[34:35], v[34:35], -v[170:171]
	v_add_f64 v[38:39], v[38:39], -v[46:47]
	v_add_f64 v[44:45], v[44:45], v[48:49]
	v_add_f64 v[22:23], v[22:23], v[46:47]
	;; [unrolled: 1-line block ×3, first 2 shown]
	v_fma_f64 v[48:49], v[44:45], s[0:1], v[32:33]
	v_fma_f64 v[32:33], v[42:43], s[12:13], v[40:41]
	v_add_f64 v[40:41], v[170:171], v[46:47]
	v_fma_f64 v[32:33], v[36:37], s[2:3], v[32:33]
	v_fma_f64 v[40:41], v[40:41], -0.5, v[166:167]
	v_add_f64 v[166:167], v[12:13], v[22:23]
	v_add_f64 v[22:23], v[12:13], -v[22:23]
	v_fma_f64 v[32:33], v[44:45], s[0:1], v[32:33]
	v_fma_f64 v[44:45], v[36:37], s[12:13], v[40:41]
	;; [unrolled: 1-line block ×7, first 2 shown]
	v_mul_f64 v[36:37], v[48:49], s[2:3]
	v_mul_f64 v[44:45], v[32:33], s[2:3]
	;; [unrolled: 1-line block ×5, first 2 shown]
	v_fma_f64 v[36:37], v[30:31], s[16:17], v[36:37]
	v_mul_f64 v[30:31], v[30:31], s[14:15]
	v_mul_f64 v[42:43], v[34:35], s[12:13]
	;; [unrolled: 1-line block ×3, first 2 shown]
	v_fma_f64 v[44:45], v[24:25], s[20:21], v[44:45]
	v_fma_f64 v[32:33], v[24:25], s[14:15], v[32:33]
	;; [unrolled: 1-line block ×4, first 2 shown]
	v_add_f64 v[168:169], v[10:11], v[36:37]
	v_fma_f64 v[30:31], v[48:49], s[16:17], v[30:31]
	v_fma_f64 v[42:43], v[26:27], s[18:19], v[42:43]
	;; [unrolled: 1-line block ×3, first 2 shown]
	v_add_f64 v[180:181], v[14:15], v[44:45]
	v_add_f64 v[182:183], v[2:3], v[32:33]
	v_add_f64 v[10:11], v[10:11], -v[36:37]
	v_add_f64 v[0:1], v[14:15], -v[44:45]
	;; [unrolled: 1-line block ×3, first 2 shown]
	v_add_f64 v[172:173], v[16:17], v[40:41]
	v_add_f64 v[174:175], v[6:7], v[28:29]
	v_add_f64 v[16:17], v[16:17], -v[40:41]
	v_add_f64 v[170:171], v[4:5], v[30:31]
	v_add_f64 v[176:177], v[18:19], v[42:43]
	;; [unrolled: 1-line block ×3, first 2 shown]
	v_add_f64 v[12:13], v[4:5], -v[30:31]
	v_add_f64 v[24:25], v[18:19], -v[42:43]
	;; [unrolled: 1-line block ×4, first 2 shown]
	ds_write_b128 v212, v[164:167]
	ds_write_b128 v212, v[168:171] offset:16
	ds_write_b128 v212, v[172:175] offset:32
	;; [unrolled: 1-line block ×9, first 2 shown]
	s_waitcnt lgkmcnt(0)
	s_barrier
	buffer_gl0_inv
	ds_read_b128 v[2:5], v255
	ds_read_b128 v[6:9], v255 offset:2720
	ds_read_b128 v[10:13], v255 offset:5440
	;; [unrolled: 1-line block ×9, first 2 shown]
	s_waitcnt lgkmcnt(0)
	s_barrier
	buffer_gl0_inv
	v_mul_f64 v[0:1], v[134:135], v[8:9]
	v_fma_f64 v[38:39], v[132:133], v[6:7], v[0:1]
	v_mul_f64 v[0:1], v[134:135], v[6:7]
	v_fma_f64 v[6:7], v[132:133], v[8:9], -v[0:1]
	v_mul_f64 v[0:1], v[130:131], v[12:13]
	v_fma_f64 v[8:9], v[128:129], v[10:11], v[0:1]
	v_mul_f64 v[0:1], v[130:131], v[10:11]
	v_add_f64 v[44:45], v[38:39], -v[8:9]
	v_fma_f64 v[10:11], v[128:129], v[12:13], -v[0:1]
	v_mul_f64 v[0:1], v[126:127], v[16:17]
	v_fma_f64 v[12:13], v[124:125], v[14:15], v[0:1]
	v_mul_f64 v[0:1], v[126:127], v[14:15]
	v_fma_f64 v[14:15], v[124:125], v[16:17], -v[0:1]
	v_mul_f64 v[0:1], v[122:123], v[20:21]
	v_add_f64 v[42:43], v[10:11], -v[14:15]
	v_fma_f64 v[16:17], v[120:121], v[18:19], v[0:1]
	v_mul_f64 v[0:1], v[122:123], v[18:19]
	v_add_f64 v[46:47], v[16:17], -v[12:13]
	v_fma_f64 v[18:19], v[120:121], v[20:21], -v[0:1]
	v_mul_f64 v[0:1], v[118:119], v[24:25]
	v_add_f64 v[44:45], v[44:45], v[46:47]
	v_fma_f64 v[20:21], v[116:117], v[22:23], v[0:1]
	v_mul_f64 v[0:1], v[118:119], v[22:23]
	v_mul_f64 v[22:23], v[114:115], v[28:29]
	v_fma_f64 v[0:1], v[116:117], v[24:25], -v[0:1]
	v_fma_f64 v[22:23], v[112:113], v[26:27], v[22:23]
	v_mul_f64 v[24:25], v[114:115], v[26:27]
	v_mul_f64 v[26:27], v[110:111], v[32:33]
	v_fma_f64 v[24:25], v[112:113], v[28:29], -v[24:25]
	;; [unrolled: 4-line block ×3, first 2 shown]
	v_fma_f64 v[30:31], v[104:105], v[34:35], v[30:31]
	v_mul_f64 v[32:33], v[106:107], v[34:35]
	v_add_f64 v[34:35], v[2:3], v[38:39]
	v_fma_f64 v[32:33], v[104:105], v[36:37], -v[32:33]
	v_add_f64 v[34:35], v[34:35], v[8:9]
	v_add_f64 v[36:37], v[6:7], -v[18:19]
	v_add_f64 v[34:35], v[34:35], v[12:13]
	v_add_f64 v[104:105], v[34:35], v[16:17]
	;; [unrolled: 1-line block ×3, first 2 shown]
	v_fma_f64 v[34:35], v[34:35], -0.5, v[2:3]
	v_fma_f64 v[40:41], v[36:37], s[12:13], v[34:35]
	v_fma_f64 v[34:35], v[36:37], s[6:7], v[34:35]
	;; [unrolled: 1-line block ×6, first 2 shown]
	v_add_f64 v[34:35], v[38:39], v[16:17]
	v_add_f64 v[40:41], v[8:9], -v[38:39]
	v_add_f64 v[44:45], v[12:13], -v[16:17]
	;; [unrolled: 1-line block ×4, first 2 shown]
	v_fma_f64 v[2:3], v[34:35], -0.5, v[2:3]
	v_add_f64 v[40:41], v[40:41], v[44:45]
	v_fma_f64 v[34:35], v[42:43], s[6:7], v[2:3]
	v_fma_f64 v[2:3], v[42:43], s[12:13], v[2:3]
	v_fma_f64 v[34:35], v[36:37], s[2:3], v[34:35]
	v_fma_f64 v[2:3], v[36:37], s[14:15], v[2:3]
	v_add_f64 v[36:37], v[18:19], -v[14:15]
	v_fma_f64 v[132:133], v[40:41], s[0:1], v[34:35]
	v_fma_f64 v[112:113], v[40:41], s[0:1], v[2:3]
	v_add_f64 v[2:3], v[4:5], v[6:7]
	v_add_f64 v[2:3], v[2:3], v[10:11]
	;; [unrolled: 1-line block ×5, first 2 shown]
	v_fma_f64 v[2:3], v[2:3], -0.5, v[4:5]
	v_fma_f64 v[34:35], v[16:17], s[6:7], v[2:3]
	v_fma_f64 v[2:3], v[16:17], s[12:13], v[2:3]
	;; [unrolled: 1-line block ×3, first 2 shown]
	v_add_f64 v[34:35], v[6:7], -v[10:11]
	v_fma_f64 v[2:3], v[8:9], s[2:3], v[2:3]
	v_add_f64 v[34:35], v[34:35], v[36:37]
	v_fma_f64 v[110:111], v[34:35], s[0:1], v[2:3]
	v_add_f64 v[2:3], v[6:7], v[18:19]
	v_add_f64 v[6:7], v[10:11], -v[6:7]
	v_add_f64 v[10:11], v[14:15], -v[18:19]
	v_fma_f64 v[118:119], v[34:35], s[0:1], v[12:13]
	v_add_f64 v[12:13], v[30:31], -v[26:27]
	v_fma_f64 v[2:3], v[2:3], -0.5, v[4:5]
	v_add_f64 v[6:7], v[6:7], v[10:11]
	v_add_f64 v[10:11], v[20:21], -v[22:23]
	v_fma_f64 v[4:5], v[8:9], s[12:13], v[2:3]
	v_fma_f64 v[2:3], v[8:9], s[6:7], v[2:3]
	v_add_f64 v[8:9], v[24:25], -v[28:29]
	v_add_f64 v[10:11], v[10:11], v[12:13]
	v_add_f64 v[12:13], v[26:27], -v[30:31]
	v_fma_f64 v[4:5], v[16:17], s[14:15], v[4:5]
	v_fma_f64 v[2:3], v[16:17], s[2:3], v[2:3]
	;; [unrolled: 1-line block ×4, first 2 shown]
	v_add_f64 v[2:3], v[164:165], v[20:21]
	v_add_f64 v[4:5], v[0:1], -v[32:33]
	v_add_f64 v[2:3], v[2:3], v[22:23]
	v_add_f64 v[2:3], v[2:3], v[26:27]
	v_add_f64 v[124:125], v[2:3], v[30:31]
	v_add_f64 v[2:3], v[22:23], v[26:27]
	v_fma_f64 v[2:3], v[2:3], -0.5, v[164:165]
	v_fma_f64 v[6:7], v[4:5], s[12:13], v[2:3]
	v_fma_f64 v[2:3], v[4:5], s[6:7], v[2:3]
	;; [unrolled: 1-line block ×6, first 2 shown]
	v_add_f64 v[2:3], v[20:21], v[30:31]
	v_add_f64 v[10:11], v[22:23], -v[20:21]
	v_fma_f64 v[2:3], v[2:3], -0.5, v[164:165]
	v_add_f64 v[10:11], v[10:11], v[12:13]
	v_add_f64 v[12:13], v[32:33], -v[28:29]
	v_fma_f64 v[6:7], v[8:9], s[6:7], v[2:3]
	v_fma_f64 v[2:3], v[8:9], s[12:13], v[2:3]
	v_add_f64 v[8:9], v[22:23], -v[26:27]
	v_fma_f64 v[6:7], v[4:5], s[2:3], v[6:7]
	v_fma_f64 v[2:3], v[4:5], s[14:15], v[2:3]
	;; [unrolled: 3-line block ×3, first 2 shown]
	v_add_f64 v[2:3], v[166:167], v[0:1]
	v_add_f64 v[10:11], v[0:1], -v[24:25]
	v_add_f64 v[2:3], v[2:3], v[24:25]
	v_add_f64 v[10:11], v[10:11], v[12:13]
	v_add_f64 v[2:3], v[2:3], v[28:29]
	v_add_f64 v[126:127], v[2:3], v[32:33]
	v_add_f64 v[2:3], v[24:25], v[28:29]
	v_fma_f64 v[2:3], v[2:3], -0.5, v[166:167]
	v_fma_f64 v[6:7], v[4:5], s[6:7], v[2:3]
	v_fma_f64 v[2:3], v[4:5], s[12:13], v[2:3]
	;; [unrolled: 1-line block ×6, first 2 shown]
	v_add_f64 v[2:3], v[0:1], v[32:33]
	v_add_f64 v[0:1], v[24:25], -v[0:1]
	v_add_f64 v[10:11], v[28:29], -v[32:33]
	v_fma_f64 v[2:3], v[2:3], -0.5, v[166:167]
	v_add_f64 v[0:1], v[0:1], v[10:11]
	v_fma_f64 v[6:7], v[8:9], s[12:13], v[2:3]
	v_fma_f64 v[2:3], v[8:9], s[6:7], v[2:3]
	;; [unrolled: 1-line block ×6, first 2 shown]
	ds_write_b128 v244, v[104:107]
	ds_write_b128 v244, v[116:119] offset:160
	ds_write_b128 v244, v[132:135] offset:320
	;; [unrolled: 1-line block ×4, first 2 shown]
	ds_write_b128 v243, v[124:127]
	ds_write_b128 v243, v[128:131] offset:160
	ds_write_b128 v243, v[168:171] offset:320
	ds_write_b128 v243, v[164:167] offset:480
	ds_write_b128 v243, v[120:123] offset:640
	s_waitcnt lgkmcnt(0)
	s_barrier
	buffer_gl0_inv
	s_and_saveexec_b32 s0, vcc_lo
	s_cbranch_execz .LBB0_7
; %bb.6:
	ds_read_b128 v[104:107], v255
	ds_read_b128 v[116:119], v255 offset:800
	ds_read_b128 v[132:135], v255 offset:1600
	ds_read_b128 v[112:115], v255 offset:2400
	ds_read_b128 v[108:111], v255 offset:3200
	ds_read_b128 v[124:127], v255 offset:4000
	ds_read_b128 v[128:131], v255 offset:4800
	ds_read_b128 v[168:171], v255 offset:5600
	ds_read_b128 v[164:167], v255 offset:6400
	ds_read_b128 v[120:123], v255 offset:7200
	ds_read_b128 v[0:3], v255 offset:8000
	s_waitcnt lgkmcnt(0)
	buffer_store_dword v0, off, s[56:59], 0 offset:48 ; 4-byte Folded Spill
	buffer_store_dword v1, off, s[56:59], 0 offset:52 ; 4-byte Folded Spill
	buffer_store_dword v2, off, s[56:59], 0 offset:56 ; 4-byte Folded Spill
	buffer_store_dword v3, off, s[56:59], 0 offset:60 ; 4-byte Folded Spill
	ds_read_b128 v[0:3], v255 offset:8800
	s_waitcnt lgkmcnt(0)
	buffer_store_dword v0, off, s[56:59], 0 offset:16 ; 4-byte Folded Spill
	buffer_store_dword v1, off, s[56:59], 0 offset:20 ; 4-byte Folded Spill
	buffer_store_dword v2, off, s[56:59], 0 offset:24 ; 4-byte Folded Spill
	buffer_store_dword v3, off, s[56:59], 0 offset:28 ; 4-byte Folded Spill
	ds_read_b128 v[0:3], v255 offset:9600
	;; [unrolled: 6-line block ×3, first 2 shown]
	s_waitcnt lgkmcnt(0)
	buffer_store_dword v0, off, s[56:59], 0 ; 4-byte Folded Spill
	buffer_store_dword v1, off, s[56:59], 0 offset:4 ; 4-byte Folded Spill
	buffer_store_dword v2, off, s[56:59], 0 offset:8 ; 4-byte Folded Spill
	buffer_store_dword v3, off, s[56:59], 0 offset:12 ; 4-byte Folded Spill
	ds_read_b128 v[0:3], v255 offset:11200
	s_waitcnt lgkmcnt(0)
	buffer_store_dword v0, off, s[56:59], 0 offset:80 ; 4-byte Folded Spill
	buffer_store_dword v1, off, s[56:59], 0 offset:84 ; 4-byte Folded Spill
	buffer_store_dword v2, off, s[56:59], 0 offset:88 ; 4-byte Folded Spill
	buffer_store_dword v3, off, s[56:59], 0 offset:92 ; 4-byte Folded Spill
	ds_read_b128 v[0:3], v255 offset:12000
	s_waitcnt lgkmcnt(0)
	buffer_store_dword v0, off, s[56:59], 0 offset:96 ; 4-byte Folded Spill
	;; [unrolled: 6-line block ×3, first 2 shown]
	buffer_store_dword v1, off, s[56:59], 0 offset:68 ; 4-byte Folded Spill
	buffer_store_dword v2, off, s[56:59], 0 offset:72 ; 4-byte Folded Spill
	;; [unrolled: 1-line block ×3, first 2 shown]
.LBB0_7:
	s_or_b32 exec_lo, exec_lo, s0
	s_and_saveexec_b32 s33, vcc_lo
	s_cbranch_execz .LBB0_9
; %bb.8:
	s_clause 0x17
	buffer_load_dword v16, off, s[56:59], 0 offset:416
	buffer_load_dword v17, off, s[56:59], 0 offset:420
	;; [unrolled: 1-line block ×24, first 2 shown]
	s_mov_b32 s24, 0xacd6c6b4
	s_mov_b32 s25, 0xbfc7851a
	;; [unrolled: 1-line block ×46, first 2 shown]
	s_waitcnt vmcnt(20)
	v_mul_f64 v[0:1], v[18:19], v[118:119]
	s_waitcnt vmcnt(14)
	v_mul_f64 v[6:7], v[32:33], v[44:45]
	;; [unrolled: 2-line block ×4, first 2 shown]
	v_mul_f64 v[26:27], v[178:179], v[120:121]
	s_clause 0x17
	buffer_load_dword v148, off, s[56:59], 0 offset:320
	buffer_load_dword v149, off, s[56:59], 0 offset:324
	;; [unrolled: 1-line block ×24, first 2 shown]
	v_mul_f64 v[4:5], v[18:19], v[116:117]
	s_waitcnt vmcnt(24)
	v_mul_f64 v[18:19], v[142:143], v[170:171]
	v_mul_f64 v[32:33], v[142:143], v[168:169]
	s_clause 0x7
	buffer_load_dword v96, off, s[56:59], 0 offset:352
	buffer_load_dword v97, off, s[56:59], 0 offset:356
	;; [unrolled: 1-line block ×8, first 2 shown]
	v_mul_f64 v[8:9], v[174:175], v[166:167]
	v_mul_f64 v[24:25], v[174:175], v[164:165]
	v_fma_f64 v[116:117], v[16:17], v[116:117], v[0:1]
	v_fma_f64 v[66:67], v[30:31], v[46:47], -v[6:7]
	v_fma_f64 v[78:79], v[30:31], v[44:45], v[2:3]
	v_fma_f64 v[122:123], v[176:177], v[122:123], -v[26:27]
	v_fma_f64 v[152:153], v[16:17], v[118:119], -v[4:5]
	v_fma_f64 v[118:119], v[172:173], v[164:165], v[8:9]
	v_add_f64 v[82:83], v[116:117], -v[78:79]
	s_waitcnt vmcnt(24)
	v_mul_f64 v[28:29], v[150:151], v[180:181]
	s_waitcnt vmcnt(20)
	v_mul_f64 v[42:43], v[92:93], v[130:131]
	v_mul_f64 v[46:47], v[92:93], v[128:129]
	s_clause 0x17
	buffer_load_dword v92, off, s[56:59], 0 offset:400
	buffer_load_dword v93, off, s[56:59], 0 offset:404
	;; [unrolled: 1-line block ×24, first 2 shown]
	s_waitcnt vmcnt(32)
	v_mul_f64 v[12:13], v[36:37], v[56:57]
	s_clause 0x3
	buffer_load_dword v68, off, s[56:59], 0 offset:448
	buffer_load_dword v69, off, s[56:59], 0 offset:452
	;; [unrolled: 1-line block ×4, first 2 shown]
	s_waitcnt vmcnt(28)
	v_mul_f64 v[44:45], v[98:99], v[162:163]
	v_mul_f64 v[2:3], v[36:37], v[54:55]
	v_mul_f64 v[48:49], v[98:99], v[160:161]
	v_mul_f64 v[10:11], v[22:23], v[134:135]
	v_mul_f64 v[0:1], v[22:23], v[132:133]
	v_mul_f64 v[40:41], v[150:151], v[178:179]
	v_fma_f64 v[146:147], v[90:91], v[130:131], -v[46:47]
	v_fma_f64 v[130:131], v[172:173], v[166:167], -v[24:25]
	v_fma_f64 v[74:75], v[34:35], v[54:55], v[12:13]
	v_add_f64 v[12:13], v[152:153], -v[66:67]
	v_fma_f64 v[30:31], v[20:21], v[132:133], v[10:11]
	v_mul_f64 v[194:195], v[12:13], s[18:19]
	s_waitcnt vmcnt(24)
	v_mul_f64 v[38:39], v[94:95], v[126:127]
	s_waitcnt vmcnt(16)
	v_mul_f64 v[50:51], v[86:87], v[144:145]
	v_mul_f64 v[54:55], v[86:87], v[142:143]
	s_clause 0x7
	buffer_load_dword v86, off, s[56:59], 0 offset:464
	buffer_load_dword v87, off, s[56:59], 0 offset:468
	;; [unrolled: 1-line block ×4, first 2 shown]
	buffer_load_dword v98, off, s[56:59], 0
	buffer_load_dword v99, off, s[56:59], 0 offset:4
	buffer_load_dword v100, off, s[56:59], 0 offset:8
	;; [unrolled: 1-line block ×3, first 2 shown]
	s_waitcnt vmcnt(20)
	v_mul_f64 v[4:5], v[60:61], v[114:115]
	s_waitcnt vmcnt(12)
	v_mul_f64 v[6:7], v[64:65], v[138:139]
	v_mul_f64 v[52:53], v[94:95], v[124:125]
	;; [unrolled: 1-line block ×4, first 2 shown]
	v_fma_f64 v[94:95], v[20:21], v[134:135], -v[0:1]
	v_fma_f64 v[64:65], v[34:35], v[56:57], -v[2:3]
	s_waitcnt vmcnt(8)
	v_mul_f64 v[0:1], v[70:71], v[110:111]
	v_mul_f64 v[34:35], v[70:71], v[108:109]
	v_add_f64 v[2:3], v[152:153], v[66:67]
	v_mul_f64 v[56:57], v[82:83], s[24:25]
	v_fma_f64 v[134:135], v[140:141], v[168:169], v[18:19]
	v_fma_f64 v[140:141], v[140:141], v[170:171], -v[32:33]
	v_add_f64 v[152:153], v[106:107], v[152:153]
	v_fma_f64 v[8:9], v[84:85], v[142:143], v[50:51]
	v_mul_f64 v[50:51], v[82:83], s[28:29]
	v_mul_f64 v[142:143], v[12:13], s[28:29]
	v_fma_f64 v[132:133], v[58:59], v[112:113], v[4:5]
	v_fma_f64 v[70:71], v[62:63], v[136:137], v[6:7]
	v_add_f64 v[6:7], v[30:31], -v[74:75]
	v_fma_f64 v[154:155], v[58:59], v[114:115], -v[10:11]
	v_fma_f64 v[76:77], v[62:63], v[138:139], -v[16:17]
	v_add_f64 v[4:5], v[116:117], v[78:79]
	v_add_f64 v[10:11], v[94:95], -v[64:65]
	v_mul_f64 v[58:59], v[12:13], s[24:25]
	v_add_f64 v[16:17], v[94:95], v[64:65]
	v_fma_f64 v[156:157], v[68:69], v[108:109], v[0:1]
	v_fma_f64 v[60:61], v[2:3], s[14:15], v[56:57]
	v_fma_f64 v[158:159], v[68:69], v[110:111], -v[34:35]
	v_fma_f64 v[138:139], v[92:93], v[126:127], -v[52:53]
	;; [unrolled: 1-line block ×3, first 2 shown]
	v_fma_f64 v[136:137], v[92:93], v[124:125], v[38:39]
	v_fma_f64 v[126:127], v[148:149], v[178:179], v[28:29]
	v_add_f64 v[94:95], v[152:153], v[94:95]
	v_add_f64 v[22:23], v[132:133], -v[70:71]
	v_mul_f64 v[62:63], v[6:7], s[26:27]
	v_add_f64 v[92:93], v[132:133], v[70:71]
	v_add_f64 v[34:35], v[154:155], -v[76:77]
	v_add_f64 v[18:19], v[154:155], v[76:77]
	v_mul_f64 v[68:69], v[10:11], s[26:27]
	v_fma_f64 v[72:73], v[4:5], s[14:15], -v[58:59]
	v_fma_f64 v[28:29], v[4:5], s[14:15], v[58:59]
	v_fma_f64 v[202:203], v[4:5], s[2:3], -v[194:195]
	v_add_f64 v[56:57], v[106:107], v[56:57]
	v_add_f64 v[94:95], v[94:95], v[154:155]
	v_mul_f64 v[52:53], v[22:23], s[28:29]
	v_add_f64 v[94:95], v[94:95], v[158:159]
	v_fma_f64 v[58:59], v[18:19], s[20:21], v[52:53]
	v_fma_f64 v[52:53], v[18:19], s[20:21], -v[52:53]
	v_add_f64 v[94:95], v[94:95], v[138:139]
	v_add_f64 v[94:95], v[94:95], v[146:147]
	;; [unrolled: 1-line block ×5, first 2 shown]
	s_waitcnt vmcnt(0)
	v_mul_f64 v[20:21], v[88:89], v[100:101]
	v_mul_f64 v[36:37], v[88:89], v[98:99]
	v_fma_f64 v[80:81], v[86:87], v[98:99], v[20:21]
	v_fma_f64 v[0:1], v[86:87], v[100:101], -v[36:37]
	v_add_f64 v[20:21], v[30:31], v[74:75]
	v_fma_f64 v[36:37], v[176:177], v[120:121], v[14:15]
	v_fma_f64 v[14:15], v[84:85], v[144:145], -v[54:55]
	v_fma_f64 v[54:55], v[16:17], s[16:17], v[62:63]
	v_add_f64 v[84:85], v[106:107], v[60:61]
	v_mul_f64 v[86:87], v[34:35], s[28:29]
	v_add_f64 v[98:99], v[104:105], v[72:73]
	v_fma_f64 v[144:145], v[90:91], v[128:129], v[42:43]
	v_fma_f64 v[72:73], v[96:97], v[160:161], v[44:45]
	v_fma_f64 v[96:97], v[96:97], v[162:163], -v[48:49]
	v_mul_f64 v[42:43], v[6:7], s[12:13]
	v_fma_f64 v[44:45], v[2:3], s[20:21], v[50:51]
	v_mul_f64 v[48:49], v[10:11], s[12:13]
	v_fma_f64 v[62:63], v[16:17], s[16:17], -v[62:63]
	v_add_f64 v[120:121], v[136:137], -v[8:9]
	v_fma_f64 v[128:129], v[148:149], v[180:181], -v[40:41]
	v_add_f64 v[40:41], v[104:105], v[28:29]
	v_mul_f64 v[148:149], v[22:23], s[34:35]
	v_mul_f64 v[160:161], v[34:35], s[34:35]
	v_fma_f64 v[50:51], v[2:3], s[20:21], -v[50:51]
	v_add_f64 v[38:39], v[156:157], -v[80:81]
	v_add_f64 v[124:125], v[158:159], -v[0:1]
	v_fma_f64 v[88:89], v[20:21], s[16:17], -v[68:69]
	v_add_f64 v[60:61], v[158:159], v[0:1]
	v_add_f64 v[114:115], v[138:139], -v[14:15]
	v_add_f64 v[90:91], v[156:157], v[80:81]
	v_add_f64 v[54:55], v[54:55], v[84:85]
	v_fma_f64 v[84:85], v[4:5], s[20:21], -v[142:143]
	v_fma_f64 v[100:101], v[92:93], s[20:21], -v[86:87]
	v_fma_f64 v[32:33], v[20:21], s[16:17], v[68:69]
	v_add_f64 v[102:103], v[144:145], -v[72:73]
	v_add_f64 v[28:29], v[138:139], v[14:15]
	v_fma_f64 v[68:69], v[16:17], s[0:1], v[42:43]
	v_add_f64 v[44:45], v[106:107], v[44:45]
	v_fma_f64 v[164:165], v[20:21], s[0:1], -v[48:49]
	v_add_f64 v[56:57], v[62:63], v[56:57]
	v_add_f64 v[112:113], v[146:147], -v[96:97]
	v_mul_f64 v[150:151], v[120:121], s[18:19]
	v_fma_f64 v[24:25], v[92:93], s[20:21], v[86:87]
	v_add_f64 v[26:27], v[146:147], v[96:97]
	v_fma_f64 v[172:173], v[92:93], s[6:7], -v[160:161]
	v_add_f64 v[110:111], v[140:141], -v[128:129]
	v_mul_f64 v[46:47], v[38:39], s[36:37]
	v_mul_f64 v[108:109], v[124:125], s[36:37]
	v_add_f64 v[98:99], v[88:89], v[98:99]
	v_add_f64 v[88:89], v[136:137], v[8:9]
	v_mul_f64 v[62:63], v[114:115], s[18:19]
	v_mul_f64 v[166:167], v[38:39], s[40:41]
	v_add_f64 v[54:55], v[58:59], v[54:55]
	v_add_f64 v[58:59], v[104:105], v[84:85]
	v_mul_f64 v[168:169], v[124:125], s[40:41]
	v_add_f64 v[32:33], v[32:33], v[40:41]
	v_fma_f64 v[40:41], v[18:19], s[6:7], v[148:149]
	v_add_f64 v[86:87], v[144:145], v[72:73]
	v_mul_f64 v[176:177], v[120:121], s[42:43]
	v_add_f64 v[44:45], v[68:69], v[44:45]
	v_mul_f64 v[68:69], v[102:103], s[12:13]
	;; [unrolled: 2-line block ×3, first 2 shown]
	v_fma_f64 v[170:171], v[28:29], s[2:3], v[150:151]
	v_mul_f64 v[180:181], v[114:115], s[42:43]
	v_fma_f64 v[150:151], v[28:29], s[2:3], -v[150:151]
	v_mul_f64 v[186:187], v[112:113], s[24:25]
	v_fma_f64 v[142:143], v[4:5], s[20:21], v[142:143]
	v_fma_f64 v[162:163], v[60:61], s[30:31], v[46:47]
	v_fma_f64 v[84:85], v[90:91], s[30:31], -v[108:109]
	v_add_f64 v[98:99], v[100:101], v[98:99]
	v_fma_f64 v[46:47], v[60:61], s[30:31], -v[46:47]
	v_add_f64 v[100:101], v[134:135], -v[126:127]
	v_fma_f64 v[174:175], v[90:91], s[30:31], v[108:109]
	v_fma_f64 v[178:179], v[60:61], s[2:3], v[166:167]
	v_add_f64 v[58:59], v[164:165], v[58:59]
	v_fma_f64 v[184:185], v[90:91], s[2:3], -v[168:169]
	v_add_f64 v[32:33], v[24:25], v[32:33]
	v_add_f64 v[24:25], v[140:141], v[128:129]
	v_add_f64 v[108:109], v[130:131], -v[122:123]
	v_fma_f64 v[42:43], v[16:17], s[0:1], -v[42:43]
	v_add_f64 v[40:41], v[40:41], v[44:45]
	v_fma_f64 v[182:183], v[26:27], s[0:1], v[68:69]
	v_fma_f64 v[190:191], v[26:27], s[0:1], -v[68:69]
	v_add_f64 v[68:69], v[118:119], v[36:37]
	v_add_f64 v[50:51], v[106:107], v[50:51]
	v_fma_f64 v[192:193], v[88:89], s[16:17], -v[180:181]
	v_fma_f64 v[48:49], v[20:21], s[0:1], v[48:49]
	v_fma_f64 v[196:197], v[86:87], s[14:15], -v[186:187]
	v_fma_f64 v[148:149], v[18:19], s[6:7], -v[148:149]
	v_add_f64 v[54:55], v[162:163], v[54:55]
	v_fma_f64 v[162:163], v[88:89], s[2:3], -v[62:63]
	v_add_f64 v[164:165], v[84:85], v[98:99]
	v_add_f64 v[46:47], v[46:47], v[52:53]
	v_add_f64 v[98:99], v[118:119], -v[36:37]
	v_mul_f64 v[44:45], v[100:101], s[22:23]
	v_add_f64 v[84:85], v[134:135], v[126:127]
	v_add_f64 v[58:59], v[172:173], v[58:59]
	v_mul_f64 v[52:53], v[110:111], s[22:23]
	v_fma_f64 v[62:63], v[88:89], s[2:3], v[62:63]
	v_mul_f64 v[172:173], v[102:103], s[24:25]
	v_fma_f64 v[166:167], v[60:61], s[2:3], -v[166:167]
	v_add_f64 v[94:95], v[94:95], v[128:129]
	v_add_f64 v[40:41], v[178:179], v[40:41]
	v_mul_f64 v[128:129], v[114:115], s[46:47]
	v_add_f64 v[50:51], v[42:43], v[50:51]
	v_add_f64 v[54:55], v[170:171], v[54:55]
	v_fma_f64 v[170:171], v[86:87], s[0:1], -v[56:57]
	v_add_f64 v[162:163], v[162:163], v[164:165]
	v_add_f64 v[164:165], v[174:175], v[32:33]
	v_fma_f64 v[174:175], v[28:29], s[16:17], v[176:177]
	v_add_f64 v[46:47], v[150:151], v[46:47]
	v_add_f64 v[32:33], v[130:131], v[122:123]
	;; [unrolled: 1-line block ×3, first 2 shown]
	v_mul_f64 v[178:179], v[98:99], s[48:49]
	v_fma_f64 v[188:189], v[24:25], s[38:39], v[44:45]
	v_mul_f64 v[150:151], v[108:109], s[48:49]
	v_fma_f64 v[56:57], v[86:87], s[0:1], v[56:57]
	v_mul_f64 v[184:185], v[82:83], s[18:19]
	v_fma_f64 v[44:45], v[24:25], s[38:39], -v[44:45]
	v_fma_f64 v[176:177], v[28:29], s[16:17], -v[176:177]
	v_mul_f64 v[122:123], v[38:39], s[24:25]
	v_add_f64 v[148:149], v[148:149], v[50:51]
	v_add_f64 v[54:55], v[182:183], v[54:55]
	v_fma_f64 v[182:183], v[84:85], s[38:39], -v[52:53]
	v_add_f64 v[162:163], v[170:171], v[162:163]
	v_add_f64 v[62:63], v[62:63], v[164:165]
	v_mul_f64 v[164:165], v[100:101], s[36:37]
	v_fma_f64 v[170:171], v[26:27], s[14:15], v[172:173]
	v_add_f64 v[40:41], v[174:175], v[40:41]
	v_mul_f64 v[174:175], v[110:111], s[36:37]
	v_add_f64 v[58:59], v[192:193], v[58:59]
	v_add_f64 v[46:47], v[190:191], v[46:47]
	v_fma_f64 v[190:191], v[32:33], s[6:7], v[178:179]
	v_fma_f64 v[192:193], v[68:69], s[6:7], -v[150:151]
	v_fma_f64 v[52:53], v[84:85], s[38:39], v[52:53]
	v_fma_f64 v[198:199], v[2:3], s[2:3], v[184:185]
	v_fma_f64 v[178:179], v[32:33], s[6:7], -v[178:179]
	v_fma_f64 v[184:185], v[2:3], s[2:3], -v[184:185]
	v_fma_f64 v[150:151], v[68:69], s[6:7], v[150:151]
	v_add_f64 v[148:149], v[166:167], v[148:149]
	v_fma_f64 v[166:167], v[88:89], s[16:17], v[180:181]
	v_mul_f64 v[180:181], v[10:11], s[46:47]
	v_add_f64 v[54:55], v[188:189], v[54:55]
	v_mul_f64 v[188:189], v[6:7], s[44:45]
	v_add_f64 v[162:163], v[182:183], v[162:163]
	v_add_f64 v[56:57], v[56:57], v[62:63]
	;; [unrolled: 1-line block ×3, first 2 shown]
	v_mul_f64 v[142:143], v[98:99], s[22:23]
	v_fma_f64 v[182:183], v[24:25], s[30:31], v[164:165]
	v_add_f64 v[40:41], v[170:171], v[40:41]
	v_mul_f64 v[170:171], v[108:109], s[22:23]
	v_fma_f64 v[200:201], v[84:85], s[30:31], -v[174:175]
	v_add_f64 v[58:59], v[196:197], v[58:59]
	v_add_f64 v[44:45], v[44:45], v[46:47]
	v_mul_f64 v[196:197], v[10:11], s[44:45]
	v_add_f64 v[198:199], v[106:107], v[198:199]
	v_fma_f64 v[164:165], v[24:25], s[30:31], -v[164:165]
	v_add_f64 v[184:185], v[106:107], v[184:185]
	v_fma_f64 v[174:175], v[84:85], s[30:31], v[174:175]
	v_add_f64 v[148:149], v[176:177], v[148:149]
	v_mul_f64 v[176:177], v[112:113], s[52:53]
	v_fma_f64 v[208:209], v[20:21], s[20:21], -v[180:181]
	v_fma_f64 v[180:181], v[20:21], s[20:21], v[180:181]
	v_add_f64 v[42:43], v[190:191], v[54:55]
	v_fma_f64 v[190:191], v[16:17], s[38:39], v[188:189]
	v_fma_f64 v[188:189], v[16:17], s[38:39], -v[188:189]
	v_add_f64 v[52:53], v[52:53], v[56:57]
	v_fma_f64 v[56:57], v[92:93], s[6:7], v[160:161]
	v_add_f64 v[48:49], v[48:49], v[62:63]
	v_fma_f64 v[54:55], v[32:33], s[38:39], v[142:143]
	v_add_f64 v[62:63], v[182:183], v[40:41]
	v_mul_f64 v[160:161], v[82:83], s[22:23]
	v_mul_f64 v[182:183], v[22:23], s[42:43]
	v_fma_f64 v[204:205], v[68:69], s[38:39], -v[170:171]
	v_add_f64 v[58:59], v[200:201], v[58:59]
	v_add_f64 v[40:41], v[192:193], v[162:163]
	;; [unrolled: 1-line block ×3, first 2 shown]
	v_mul_f64 v[162:163], v[34:35], s[42:43]
	v_fma_f64 v[178:179], v[20:21], s[38:39], -v[196:197]
	v_add_f64 v[192:193], v[104:105], v[202:203]
	v_mul_f64 v[202:203], v[38:39], s[28:29]
	v_fma_f64 v[196:197], v[20:21], s[38:39], v[196:197]
	v_fma_f64 v[142:143], v[32:33], s[38:39], -v[142:143]
	v_fma_f64 v[170:171], v[68:69], s[38:39], v[170:171]
	v_add_f64 v[190:191], v[190:191], v[198:199]
	v_add_f64 v[184:185], v[188:189], v[184:185]
	;; [unrolled: 1-line block ×3, first 2 shown]
	v_fma_f64 v[52:53], v[90:91], s[2:3], v[168:169]
	v_add_f64 v[56:57], v[56:57], v[48:49]
	v_mul_f64 v[150:151], v[12:13], s[22:23]
	v_mul_f64 v[168:169], v[6:7], s[46:47]
	v_fma_f64 v[200:201], v[2:3], s[38:39], -v[160:161]
	v_fma_f64 v[206:207], v[18:19], s[16:17], v[182:183]
	v_add_f64 v[50:51], v[54:55], v[62:63]
	v_add_f64 v[48:49], v[204:205], v[58:59]
	v_fma_f64 v[54:55], v[26:27], s[14:15], -v[172:173]
	v_mul_f64 v[58:59], v[124:125], s[28:29]
	v_fma_f64 v[62:63], v[4:5], s[2:3], v[194:195]
	v_fma_f64 v[172:173], v[92:93], s[16:17], -v[162:163]
	v_add_f64 v[178:179], v[178:179], v[192:193]
	v_fma_f64 v[182:183], v[18:19], s[16:17], -v[182:183]
	v_fma_f64 v[160:161], v[2:3], s[38:39], v[160:161]
	v_mul_f64 v[198:199], v[120:121], s[48:49]
	v_mul_f64 v[204:205], v[114:115], s[48:49]
	v_fma_f64 v[162:163], v[92:93], s[16:17], v[162:163]
	v_add_f64 v[52:53], v[52:53], v[56:57]
	v_mul_f64 v[56:57], v[22:23], s[36:37]
	v_fma_f64 v[188:189], v[4:5], s[38:39], -v[150:151]
	v_fma_f64 v[192:193], v[16:17], s[20:21], -v[168:169]
	v_add_f64 v[194:195], v[106:107], v[200:201]
	v_fma_f64 v[200:201], v[60:61], s[20:21], v[202:203]
	v_add_f64 v[190:191], v[206:207], v[190:191]
	v_fma_f64 v[168:169], v[16:17], s[20:21], v[168:169]
	v_fma_f64 v[206:207], v[90:91], s[20:21], -v[58:59]
	v_add_f64 v[62:63], v[104:105], v[62:63]
	v_add_f64 v[54:55], v[54:55], v[148:149]
	;; [unrolled: 1-line block ×3, first 2 shown]
	v_fma_f64 v[178:179], v[60:61], s[20:21], -v[202:203]
	v_add_f64 v[182:183], v[182:183], v[184:185]
	v_add_f64 v[160:161], v[106:107], v[160:161]
	v_mul_f64 v[184:185], v[38:39], s[50:51]
	v_mul_f64 v[202:203], v[34:35], s[36:37]
	v_fma_f64 v[212:213], v[28:29], s[6:7], v[198:199]
	v_fma_f64 v[198:199], v[28:29], s[6:7], -v[198:199]
	v_mul_f64 v[148:149], v[110:111], s[24:25]
	v_fma_f64 v[58:59], v[90:91], s[20:21], v[58:59]
	v_fma_f64 v[150:151], v[4:5], s[38:39], v[150:151]
	v_add_f64 v[52:53], v[166:167], v[52:53]
	v_fma_f64 v[210:211], v[18:19], s[30:31], -v[56:57]
	v_add_f64 v[188:189], v[104:105], v[188:189]
	v_fma_f64 v[56:57], v[18:19], s[30:31], v[56:57]
	v_add_f64 v[192:193], v[192:193], v[194:195]
	v_mul_f64 v[194:195], v[102:103], s[52:53]
	v_add_f64 v[190:191], v[200:201], v[190:191]
	v_mul_f64 v[166:167], v[120:121], s[24:25]
	v_add_f64 v[62:63], v[196:197], v[62:63]
	v_fma_f64 v[196:197], v[88:89], s[6:7], -v[204:205]
	v_add_f64 v[172:173], v[206:207], v[172:173]
	v_mul_f64 v[206:207], v[100:101], s[24:25]
	v_add_f64 v[178:179], v[178:179], v[182:183]
	v_fma_f64 v[182:183], v[86:87], s[14:15], v[186:187]
	v_add_f64 v[160:161], v[168:169], v[160:161]
	v_mul_f64 v[168:169], v[124:125], s[50:51]
	v_fma_f64 v[186:187], v[92:93], s[30:31], -v[202:203]
	v_fma_f64 v[200:201], v[60:61], s[0:1], -v[184:185]
	v_add_f64 v[54:55], v[164:165], v[54:55]
	v_mul_f64 v[164:165], v[108:109], s[12:13]
	v_fma_f64 v[204:205], v[88:89], s[6:7], v[204:205]
	v_add_f64 v[150:151], v[104:105], v[150:151]
	v_add_f64 v[188:189], v[208:209], v[188:189]
	;; [unrolled: 1-line block ×3, first 2 shown]
	v_fma_f64 v[208:209], v[26:27], s[30:31], v[194:195]
	v_add_f64 v[190:191], v[212:213], v[190:191]
	v_fma_f64 v[194:195], v[26:27], s[30:31], -v[194:195]
	v_mul_f64 v[210:211], v[98:99], s[18:19]
	v_add_f64 v[62:63], v[162:163], v[62:63]
	v_fma_f64 v[162:163], v[86:87], s[30:31], -v[176:177]
	v_add_f64 v[172:173], v[196:197], v[172:173]
	v_fma_f64 v[176:177], v[86:87], s[30:31], v[176:177]
	v_add_f64 v[178:179], v[198:199], v[178:179]
	v_add_f64 v[52:53], v[182:183], v[52:53]
	v_fma_f64 v[182:183], v[60:61], s[0:1], v[184:185]
	v_add_f64 v[56:57], v[56:57], v[160:161]
	v_mul_f64 v[160:161], v[102:103], s[48:49]
	v_mul_f64 v[184:185], v[114:115], s[24:25]
	v_fma_f64 v[196:197], v[90:91], s[0:1], -v[168:169]
	v_mul_f64 v[198:199], v[98:99], s[12:13]
	v_mul_f64 v[212:213], v[110:111], s[42:43]
	v_add_f64 v[150:151], v[180:181], v[150:151]
	v_add_f64 v[186:187], v[186:187], v[188:189]
	v_fma_f64 v[188:189], v[28:29], s[14:15], -v[166:167]
	v_add_f64 v[192:193], v[200:201], v[192:193]
	v_fma_f64 v[200:201], v[24:25], s[14:15], v[206:207]
	v_add_f64 v[190:191], v[208:209], v[190:191]
	v_fma_f64 v[166:167], v[28:29], s[14:15], v[166:167]
	v_add_f64 v[58:59], v[58:59], v[62:63]
	v_fma_f64 v[62:63], v[84:85], s[14:15], -v[148:149]
	v_add_f64 v[162:163], v[162:163], v[172:173]
	v_fma_f64 v[172:173], v[24:25], s[14:15], -v[206:207]
	v_add_f64 v[178:179], v[194:195], v[178:179]
	v_mul_f64 v[194:195], v[82:83], s[34:35]
	v_mul_f64 v[206:207], v[112:113], s[48:49]
	v_add_f64 v[56:57], v[182:183], v[56:57]
	v_mul_f64 v[182:183], v[100:101], s[42:43]
	v_fma_f64 v[208:209], v[88:89], s[14:15], -v[184:185]
	v_add_f64 v[52:53], v[174:175], v[52:53]
	v_fma_f64 v[174:175], v[32:33], s[0:1], v[198:199]
	v_fma_f64 v[148:149], v[84:85], s[14:15], v[148:149]
	s_mov_b32 s49, 0x3fc7851a
	s_mov_b32 s48, s24
	v_add_f64 v[186:187], v[196:197], v[186:187]
	v_fma_f64 v[196:197], v[26:27], s[6:7], -v[160:161]
	v_add_f64 v[188:189], v[188:189], v[192:193]
	v_mul_f64 v[192:193], v[12:13], s[34:35]
	v_add_f64 v[190:191], v[200:201], v[190:191]
	v_fma_f64 v[160:161], v[26:27], s[6:7], v[160:161]
	v_add_f64 v[200:201], v[204:205], v[58:59]
	v_fma_f64 v[204:205], v[68:69], s[0:1], -v[164:165]
	v_add_f64 v[62:63], v[62:63], v[162:163]
	v_fma_f64 v[162:163], v[32:33], s[0:1], -v[198:199]
	v_add_f64 v[172:173], v[172:173], v[178:179]
	v_mul_f64 v[178:179], v[6:7], s[24:25]
	v_fma_f64 v[198:199], v[2:3], s[6:7], v[194:195]
	v_add_f64 v[166:167], v[166:167], v[56:57]
	v_fma_f64 v[214:215], v[86:87], s[6:7], -v[206:207]
	v_add_f64 v[58:59], v[142:143], v[54:55]
	v_add_f64 v[56:57], v[170:171], v[52:53]
	v_mul_f64 v[170:171], v[10:11], s[24:25]
	v_fma_f64 v[180:181], v[24:25], s[16:17], v[182:183]
	v_fma_f64 v[142:143], v[68:69], s[0:1], v[164:165]
	;; [unrolled: 1-line block ×3, first 2 shown]
	v_add_f64 v[186:187], v[208:209], v[186:187]
	v_fma_f64 v[208:209], v[24:25], s[16:17], -v[182:183]
	v_add_f64 v[188:189], v[196:197], v[188:189]
	v_fma_f64 v[196:197], v[92:93], s[30:31], v[202:203]
	v_fma_f64 v[202:203], v[4:5], s[6:7], -v[192:193]
	v_add_f64 v[54:55], v[174:175], v[190:191]
	v_fma_f64 v[190:191], v[2:3], s[6:7], -v[194:195]
	v_add_f64 v[176:177], v[176:177], v[200:201]
	v_mul_f64 v[174:175], v[22:23], s[44:45]
	v_add_f64 v[52:53], v[204:205], v[62:63]
	v_mul_f64 v[168:169], v[34:35], s[44:45]
	v_add_f64 v[62:63], v[162:163], v[172:173]
	v_fma_f64 v[182:183], v[16:17], s[14:15], v[178:179]
	v_add_f64 v[194:195], v[106:107], v[198:199]
	v_add_f64 v[160:161], v[160:161], v[166:167]
	v_fma_f64 v[166:167], v[84:85], s[16:17], -v[212:213]
	v_mul_f64 v[200:201], v[82:83], s[50:51]
	v_fma_f64 v[178:179], v[16:17], s[14:15], -v[178:179]
	v_fma_f64 v[198:199], v[20:21], s[14:15], -v[170:171]
	v_fma_f64 v[152:153], v[20:21], s[14:15], v[170:171]
	v_mul_f64 v[162:163], v[108:109], s[18:19]
	v_add_f64 v[172:173], v[214:215], v[186:187]
	v_fma_f64 v[186:187], v[32:33], s[2:3], -v[210:211]
	v_add_f64 v[188:189], v[208:209], v[188:189]
	v_add_f64 v[196:197], v[196:197], v[150:151]
	;; [unrolled: 1-line block ×3, first 2 shown]
	v_mul_f64 v[208:209], v[12:13], s[50:51]
	v_add_f64 v[190:191], v[106:107], v[190:191]
	v_add_f64 v[148:149], v[148:149], v[176:177]
	v_mul_f64 v[176:177], v[38:39], s[26:27]
	v_fma_f64 v[204:205], v[18:19], s[38:39], v[174:175]
	v_mul_f64 v[214:215], v[10:11], s[18:19]
	v_fma_f64 v[174:175], v[18:19], s[38:39], -v[174:175]
	v_fma_f64 v[150:151], v[32:33], s[2:3], v[210:211]
	v_add_f64 v[182:183], v[182:183], v[194:195]
	v_add_f64 v[194:195], v[104:105], v[116:117]
	;; [unrolled: 1-line block ×3, first 2 shown]
	v_mul_f64 v[180:181], v[124:125], s[26:27]
	v_fma_f64 v[170:171], v[2:3], s[0:1], -v[200:201]
	v_fma_f64 v[210:211], v[68:69], s[2:3], -v[162:163]
	v_add_f64 v[166:167], v[166:167], v[172:173]
	v_fma_f64 v[172:173], v[88:89], s[14:15], v[184:185]
	v_add_f64 v[116:117], v[186:187], v[188:189]
	v_fma_f64 v[184:185], v[4:5], s[6:7], v[192:193]
	v_fma_f64 v[186:187], v[92:93], s[38:39], -v[168:169]
	v_mul_f64 v[188:189], v[6:7], s[18:19]
	v_fma_f64 v[192:193], v[2:3], s[0:1], v[200:201]
	v_add_f64 v[198:199], v[198:199], v[202:203]
	v_add_f64 v[164:165], v[164:165], v[196:197]
	v_fma_f64 v[216:217], v[4:5], s[0:1], -v[208:209]
	v_fma_f64 v[196:197], v[86:87], s[6:7], v[206:207]
	v_mul_f64 v[202:203], v[120:121], s[50:51]
	v_fma_f64 v[206:207], v[60:61], s[16:17], v[176:177]
	v_add_f64 v[178:179], v[178:179], v[190:191]
	v_add_f64 v[30:31], v[194:195], v[30:31]
	;; [unrolled: 1-line block ×3, first 2 shown]
	v_mul_f64 v[190:191], v[114:115], s[50:51]
	v_fma_f64 v[204:205], v[90:91], s[16:17], -v[180:181]
	v_mul_f64 v[194:195], v[22:23], s[48:49]
	v_fma_f64 v[218:219], v[20:21], s[2:3], -v[214:215]
	v_fma_f64 v[176:177], v[60:61], s[16:17], -v[176:177]
	v_add_f64 v[170:171], v[106:107], v[170:171]
	v_fma_f64 v[168:169], v[92:93], s[38:39], v[168:169]
	v_add_f64 v[184:185], v[104:105], v[184:185]
	v_fma_f64 v[200:201], v[16:17], s[2:3], v[188:189]
	v_add_f64 v[192:193], v[106:107], v[192:193]
	v_add_f64 v[186:187], v[186:187], v[198:199]
	;; [unrolled: 1-line block ×3, first 2 shown]
	v_fma_f64 v[172:173], v[84:85], s[16:17], v[212:213]
	v_mul_f64 v[212:213], v[34:35], s[48:49]
	v_add_f64 v[216:217], v[104:105], v[216:217]
	v_fma_f64 v[154:155], v[16:17], s[2:3], -v[188:189]
	v_add_f64 v[174:175], v[174:175], v[178:179]
	v_add_f64 v[30:31], v[30:31], v[132:133]
	v_fma_f64 v[178:179], v[28:29], s[0:1], v[202:203]
	v_add_f64 v[182:183], v[206:207], v[182:183]
	v_mul_f64 v[206:207], v[112:113], s[28:29]
	v_fma_f64 v[132:133], v[88:89], s[0:1], -v[190:191]
	v_fma_f64 v[188:189], v[18:19], s[14:15], v[194:195]
	v_mul_f64 v[198:199], v[102:103], s[28:29]
	v_fma_f64 v[202:203], v[28:29], s[0:1], -v[202:203]
	v_fma_f64 v[158:159], v[18:19], s[14:15], -v[194:195]
	v_add_f64 v[152:153], v[152:153], v[184:185]
	v_mul_f64 v[184:185], v[38:39], s[44:45]
	v_mul_f64 v[38:39], v[38:39], s[34:35]
	v_add_f64 v[192:193], v[200:201], v[192:193]
	v_add_f64 v[186:187], v[204:205], v[186:187]
	v_fma_f64 v[200:201], v[4:5], s[0:1], v[208:209]
	v_mul_f64 v[204:205], v[124:125], s[44:45]
	v_fma_f64 v[208:209], v[92:93], s[14:15], -v[212:213]
	v_add_f64 v[216:217], v[218:219], v[216:217]
	v_add_f64 v[164:165], v[196:197], v[164:165]
	v_mul_f64 v[196:197], v[100:101], s[40:41]
	v_add_f64 v[30:31], v[30:31], v[156:157]
	v_add_f64 v[174:175], v[176:177], v[174:175]
	v_add_f64 v[178:179], v[178:179], v[182:183]
	v_mul_f64 v[182:183], v[110:111], s[40:41]
	v_fma_f64 v[156:157], v[86:87], s[20:21], -v[206:207]
	v_add_f64 v[154:155], v[154:155], v[170:171]
	v_fma_f64 v[170:171], v[90:91], s[16:17], v[180:181]
	v_fma_f64 v[176:177], v[26:27], s[20:21], v[198:199]
	v_fma_f64 v[198:199], v[26:27], s[20:21], -v[198:199]
	v_add_f64 v[152:153], v[168:169], v[152:153]
	v_mul_f64 v[168:169], v[120:121], s[36:37]
	v_fma_f64 v[180:181], v[60:61], s[38:39], v[184:185]
	v_add_f64 v[188:189], v[188:189], v[192:193]
	v_add_f64 v[132:133], v[132:133], v[186:187]
	v_fma_f64 v[192:193], v[20:21], s[2:3], v[214:215]
	v_add_f64 v[194:195], v[104:105], v[200:201]
	v_mul_f64 v[200:201], v[114:115], s[36:37]
	v_fma_f64 v[214:215], v[90:91], s[38:39], -v[204:205]
	v_add_f64 v[208:209], v[208:209], v[216:217]
	v_fma_f64 v[138:139], v[60:61], s[38:39], -v[184:185]
	v_add_f64 v[30:31], v[30:31], v[136:137]
	v_add_f64 v[174:175], v[202:203], v[174:175]
	v_fma_f64 v[202:203], v[24:25], s[2:3], v[196:197]
	v_fma_f64 v[136:137], v[84:85], s[2:3], -v[182:183]
	v_fma_f64 v[140:141], v[84:85], s[2:3], v[182:183]
	v_add_f64 v[154:155], v[158:159], v[154:155]
	v_fma_f64 v[158:159], v[88:89], s[0:1], v[190:191]
	v_fma_f64 v[190:191], v[24:25], s[2:3], -v[196:197]
	v_add_f64 v[176:177], v[176:177], v[178:179]
	v_mul_f64 v[186:187], v[98:99], s[36:37]
	v_mul_f64 v[178:179], v[108:109], s[36:37]
	v_add_f64 v[152:153], v[170:171], v[152:153]
	v_mul_f64 v[170:171], v[102:103], s[42:43]
	v_fma_f64 v[184:185], v[28:29], s[30:31], v[168:169]
	v_add_f64 v[180:181], v[180:181], v[188:189]
	v_add_f64 v[132:133], v[156:157], v[132:133]
	v_fma_f64 v[156:157], v[68:69], s[2:3], v[162:163]
	v_add_f64 v[188:189], v[192:193], v[194:195]
	v_mul_f64 v[192:193], v[112:113], s[42:43]
	v_fma_f64 v[194:195], v[88:89], s[30:31], -v[200:201]
	v_add_f64 v[196:197], v[214:215], v[208:209]
	v_fma_f64 v[162:163], v[92:93], s[14:15], v[212:213]
	v_add_f64 v[30:31], v[30:31], v[144:145]
	v_add_f64 v[174:175], v[198:199], v[174:175]
	v_fma_f64 v[146:147], v[28:29], s[30:31], -v[168:169]
	v_add_f64 v[164:165], v[172:173], v[164:165]
	v_add_f64 v[138:139], v[138:139], v[154:155]
	v_fma_f64 v[154:155], v[86:87], s[20:21], v[206:207]
	v_add_f64 v[176:177], v[202:203], v[176:177]
	v_fma_f64 v[172:173], v[32:33], s[30:31], v[186:187]
	v_fma_f64 v[144:145], v[68:69], s[30:31], -v[178:179]
	v_add_f64 v[152:153], v[158:159], v[152:153]
	v_fma_f64 v[168:169], v[26:27], s[16:17], v[170:171]
	v_fma_f64 v[170:171], v[26:27], s[16:17], -v[170:171]
	v_add_f64 v[180:181], v[184:185], v[180:181]
	v_add_f64 v[132:133], v[136:137], v[132:133]
	v_mul_f64 v[136:137], v[82:83], s[52:53]
	v_mul_f64 v[82:83], v[82:83], s[42:43]
	v_fma_f64 v[198:199], v[86:87], s[16:17], -v[192:193]
	v_fma_f64 v[184:185], v[90:91], s[38:39], v[204:205]
	v_add_f64 v[194:195], v[194:195], v[196:197]
	v_add_f64 v[162:163], v[162:163], v[188:189]
	;; [unrolled: 1-line block ×3, first 2 shown]
	v_mul_f64 v[134:135], v[12:13], s[42:43]
	v_mul_f64 v[12:13], v[12:13], s[52:53]
	;; [unrolled: 1-line block ×3, first 2 shown]
	v_add_f64 v[174:175], v[190:191], v[174:175]
	v_add_f64 v[138:139], v[146:147], v[138:139]
	v_fma_f64 v[190:191], v[88:89], s[30:31], v[200:201]
	v_mul_f64 v[204:205], v[34:35], s[18:19]
	v_mul_f64 v[34:35], v[34:35], s[50:51]
	;; [unrolled: 1-line block ×4, first 2 shown]
	v_add_f64 v[146:147], v[154:155], v[152:153]
	v_mul_f64 v[152:153], v[98:99], s[28:29]
	v_fma_f64 v[186:187], v[32:33], s[30:31], -v[186:187]
	v_add_f64 v[168:169], v[168:169], v[180:181]
	v_mul_f64 v[180:181], v[6:7], s[34:35]
	v_fma_f64 v[182:183], v[2:3], s[30:31], -v[136:137]
	v_mul_f64 v[6:7], v[6:7], s[52:53]
	v_fma_f64 v[136:137], v[2:3], s[30:31], v[136:137]
	v_fma_f64 v[178:179], v[68:69], s[30:31], v[178:179]
	v_add_f64 v[194:195], v[198:199], v[194:195]
	v_fma_f64 v[198:199], v[2:3], s[16:17], -v[82:83]
	v_add_f64 v[30:31], v[30:31], v[118:119]
	v_add_f64 v[162:163], v[184:185], v[162:163]
	v_mul_f64 v[184:185], v[10:11], s[34:35]
	v_mul_f64 v[10:11], v[10:11], s[52:53]
	v_fma_f64 v[118:119], v[4:5], s[16:17], v[134:135]
	v_fma_f64 v[130:131], v[4:5], s[30:31], v[12:13]
	v_fma_f64 v[12:13], v[4:5], s[30:31], -v[12:13]
	v_fma_f64 v[2:3], v[2:3], s[16:17], v[82:83]
	v_fma_f64 v[4:5], v[4:5], s[16:17], -v[134:135]
	v_fma_f64 v[200:201], v[84:85], s[6:7], -v[188:189]
	v_add_f64 v[138:139], v[170:171], v[138:139]
	v_fma_f64 v[170:171], v[84:85], s[6:7], v[188:189]
	v_fma_f64 v[188:189], v[86:87], s[16:17], v[192:193]
	v_mul_f64 v[192:193], v[22:23], s[18:19]
	v_mul_f64 v[22:23], v[22:23], s[50:51]
	v_fma_f64 v[202:203], v[16:17], s[6:7], -v[180:181]
	v_add_f64 v[182:183], v[106:107], v[182:183]
	v_fma_f64 v[82:83], v[16:17], s[30:31], -v[6:7]
	v_add_f64 v[136:137], v[106:107], v[136:137]
	v_fma_f64 v[6:7], v[16:17], s[30:31], v[6:7]
	v_fma_f64 v[154:155], v[24:25], s[6:7], v[158:159]
	v_add_f64 v[134:135], v[106:107], v[198:199]
	v_add_f64 v[30:31], v[30:31], v[36:37]
	;; [unrolled: 1-line block ×3, first 2 shown]
	v_fma_f64 v[190:191], v[20:21], s[6:7], v[184:185]
	v_fma_f64 v[198:199], v[20:21], s[30:31], v[10:11]
	v_add_f64 v[36:37], v[104:105], v[118:119]
	v_add_f64 v[118:119], v[104:105], v[130:131]
	v_fma_f64 v[130:131], v[16:17], s[6:7], v[180:181]
	v_fma_f64 v[184:185], v[20:21], s[6:7], -v[184:185]
	v_add_f64 v[12:13], v[104:105], v[12:13]
	v_add_f64 v[2:3], v[106:107], v[2:3]
	v_fma_f64 v[10:11], v[20:21], s[30:31], -v[10:11]
	v_add_f64 v[4:5], v[104:105], v[4:5]
	v_mul_f64 v[16:17], v[124:125], s[34:35]
	v_fma_f64 v[206:207], v[18:19], s[2:3], -v[192:193]
	v_fma_f64 v[20:21], v[18:19], s[0:1], -v[22:23]
	v_fma_f64 v[104:105], v[92:93], s[0:1], v[34:35]
	v_add_f64 v[182:183], v[202:203], v[182:183]
	v_mul_f64 v[180:181], v[124:125], s[24:25]
	v_fma_f64 v[202:203], v[92:93], s[2:3], v[204:205]
	v_fma_f64 v[124:125], v[18:19], s[2:3], v[192:193]
	;; [unrolled: 1-line block ×3, first 2 shown]
	v_add_f64 v[82:83], v[82:83], v[134:135]
	v_add_f64 v[30:31], v[30:31], v[126:127]
	v_fma_f64 v[134:135], v[60:61], s[14:15], -v[122:123]
	v_fma_f64 v[22:23], v[60:61], s[6:7], -v[38:39]
	v_fma_f64 v[38:39], v[60:61], s[6:7], v[38:39]
	v_add_f64 v[36:37], v[198:199], v[36:37]
	v_add_f64 v[106:107], v[190:191], v[118:119]
	;; [unrolled: 1-line block ×3, first 2 shown]
	v_fma_f64 v[130:131], v[92:93], s[2:3], -v[204:205]
	v_add_f64 v[12:13], v[184:185], v[12:13]
	v_add_f64 v[2:3], v[6:7], v[2:3]
	v_fma_f64 v[6:7], v[92:93], s[0:1], -v[34:35]
	v_add_f64 v[4:5], v[10:11], v[4:5]
	v_mul_f64 v[118:119], v[120:121], s[46:47]
	v_mul_f64 v[120:121], v[120:121], s[22:23]
	v_mul_f64 v[10:11], v[114:115], s[22:23]
	v_fma_f64 v[34:35], v[90:91], s[6:7], v[16:17]
	v_add_f64 v[136:137], v[206:207], v[182:183]
	v_fma_f64 v[182:183], v[90:91], s[14:15], v[180:181]
	v_fma_f64 v[16:17], v[90:91], s[6:7], -v[16:17]
	v_mul_f64 v[92:93], v[102:103], s[44:45]
	v_mul_f64 v[102:103], v[102:103], s[18:19]
	v_add_f64 v[20:21], v[20:21], v[82:83]
	v_add_f64 v[82:83], v[94:95], v[96:97]
	;; [unrolled: 1-line block ×3, first 2 shown]
	v_fma_f64 v[94:95], v[60:61], s[14:15], v[122:123]
	v_fma_f64 v[158:159], v[24:25], s[6:7], -v[158:159]
	v_add_f64 v[36:37], v[104:105], v[36:37]
	v_add_f64 v[72:73], v[202:203], v[106:107]
	;; [unrolled: 1-line block ×3, first 2 shown]
	v_fma_f64 v[106:107], v[90:91], s[14:15], -v[180:181]
	v_add_f64 v[12:13], v[130:131], v[12:13]
	v_add_f64 v[2:3], v[18:19], v[2:3]
	v_mul_f64 v[104:105], v[112:113], s[44:45]
	v_add_f64 v[4:5], v[6:7], v[4:5]
	v_fma_f64 v[114:115], v[28:29], s[20:21], -v[118:119]
	v_fma_f64 v[18:19], v[28:29], s[38:39], -v[120:121]
	v_mul_f64 v[6:7], v[112:113], s[18:19]
	v_fma_f64 v[124:125], v[88:89], s[20:21], v[128:129]
	v_add_f64 v[122:123], v[134:135], v[136:137]
	v_fma_f64 v[60:61], v[28:29], s[20:21], v[118:119]
	v_fma_f64 v[90:91], v[88:89], s[20:21], -v[128:129]
	v_fma_f64 v[28:29], v[28:29], s[38:39], v[120:121]
	v_add_f64 v[20:21], v[22:23], v[20:21]
	v_add_f64 v[14:15], v[82:83], v[14:15]
	;; [unrolled: 1-line block ×3, first 2 shown]
	v_fma_f64 v[22:23], v[88:89], s[38:39], v[10:11]
	v_fma_f64 v[10:11], v[88:89], s[38:39], -v[10:11]
	v_add_f64 v[30:31], v[34:35], v[36:37]
	v_add_f64 v[34:35], v[182:183], v[72:73]
	;; [unrolled: 1-line block ×3, first 2 shown]
	v_mul_f64 v[36:37], v[100:101], s[12:13]
	v_add_f64 v[12:13], v[106:107], v[12:13]
	v_add_f64 v[2:3], v[38:39], v[2:3]
	v_fma_f64 v[94:95], v[26:27], s[38:39], -v[92:93]
	v_add_f64 v[4:5], v[16:17], v[4:5]
	v_mul_f64 v[100:101], v[100:101], s[28:29]
	v_fma_f64 v[38:39], v[26:27], s[2:3], -v[102:103]
	v_mul_f64 v[16:17], v[110:111], s[28:29]
	v_mul_f64 v[82:83], v[110:111], s[12:13]
	v_add_f64 v[96:97], v[114:115], v[122:123]
	v_fma_f64 v[106:107], v[86:87], s[38:39], v[104:105]
	v_add_f64 v[114:115], v[156:157], v[164:165]
	v_add_f64 v[18:19], v[18:19], v[20:21]
	;; [unrolled: 1-line block ×4, first 2 shown]
	v_fma_f64 v[20:21], v[86:87], s[2:3], v[6:7]
	v_fma_f64 v[80:81], v[86:87], s[38:39], -v[104:105]
	v_add_f64 v[14:15], v[22:23], v[30:31]
	v_add_f64 v[22:23], v[124:125], v[34:35]
	v_fma_f64 v[34:35], v[26:27], s[38:39], v[92:93]
	v_add_f64 v[60:61], v[60:61], v[72:73]
	v_add_f64 v[12:13], v[90:91], v[12:13]
	v_fma_f64 v[26:27], v[26:27], s[2:3], v[102:103]
	v_add_f64 v[2:3], v[28:29], v[2:3]
	v_fma_f64 v[6:7], v[86:87], s[2:3], -v[6:7]
	v_add_f64 v[4:5], v[10:11], v[4:5]
	v_fma_f64 v[28:29], v[24:25], s[20:21], -v[100:101]
	v_mul_f64 v[10:11], v[108:109], s[24:25]
	v_mul_f64 v[30:31], v[98:99], s[26:27]
	v_add_f64 v[90:91], v[94:95], v[96:97]
	v_mul_f64 v[94:95], v[98:99], s[24:25]
	v_mul_f64 v[72:73], v[108:109], s[26:27]
	v_fma_f64 v[88:89], v[24:25], s[0:1], -v[36:37]
	v_fma_f64 v[92:93], v[84:85], s[0:1], v[82:83]
	v_add_f64 v[18:19], v[38:39], v[18:19]
	v_add_f64 v[0:1], v[0:1], v[76:77]
	;; [unrolled: 1-line block ×3, first 2 shown]
	v_fma_f64 v[38:39], v[84:85], s[20:21], v[16:17]
	v_fma_f64 v[36:37], v[24:25], s[0:1], v[36:37]
	v_add_f64 v[14:15], v[20:21], v[14:15]
	v_add_f64 v[20:21], v[106:107], v[22:23]
	;; [unrolled: 1-line block ×4, first 2 shown]
	v_fma_f64 v[60:61], v[84:85], s[0:1], -v[82:83]
	v_add_f64 v[12:13], v[80:81], v[12:13]
	v_fma_f64 v[24:25], v[24:25], s[20:21], v[100:101]
	v_add_f64 v[2:3], v[26:27], v[2:3]
	v_fma_f64 v[16:17], v[84:85], s[20:21], -v[16:17]
	v_add_f64 v[4:5], v[6:7], v[4:5]
	v_fma_f64 v[70:71], v[32:33], s[20:21], -v[152:153]
	v_fma_f64 v[80:81], v[32:33], s[16:17], -v[30:31]
	v_add_f64 v[76:77], v[158:159], v[138:139]
	v_fma_f64 v[84:85], v[32:33], s[14:15], -v[94:95]
	v_fma_f64 v[26:27], v[68:69], s[16:17], v[72:73]
	v_add_f64 v[82:83], v[88:89], v[90:91]
	v_fma_f64 v[86:87], v[68:69], s[20:21], v[196:197]
	v_add_f64 v[18:19], v[28:29], v[18:19]
	v_add_f64 v[0:1], v[0:1], v[64:65]
	;; [unrolled: 1-line block ×3, first 2 shown]
	v_fma_f64 v[28:29], v[68:69], s[14:15], v[10:11]
	v_add_f64 v[64:65], v[140:141], v[146:147]
	v_add_f64 v[38:39], v[38:39], v[14:15]
	;; [unrolled: 1-line block ×4, first 2 shown]
	v_fma_f64 v[74:75], v[32:33], s[20:21], v[152:153]
	v_add_f64 v[88:89], v[154:155], v[168:169]
	v_fma_f64 v[90:91], v[68:69], s[20:21], -v[196:197]
	v_add_f64 v[92:93], v[200:201], v[194:195]
	v_fma_f64 v[96:97], v[32:33], s[16:17], v[30:31]
	v_add_f64 v[34:35], v[36:37], v[34:35]
	v_fma_f64 v[36:37], v[68:69], s[16:17], -v[72:73]
	v_add_f64 v[72:73], v[60:61], v[12:13]
	;; [unrolled: 4-line block ×3, first 2 shown]
	v_add_f64 v[10:11], v[80:81], v[82:83]
	v_add_f64 v[6:7], v[70:71], v[76:77]
	v_add_f64 v[14:15], v[84:85], v[18:19]
	v_add_f64 v[18:19], v[0:1], v[66:67]
	v_add_f64 v[16:17], v[8:9], v[78:79]
	v_add_f64 v[2:3], v[186:187], v[174:175]
	v_add_f64 v[0:1], v[178:179], v[64:65]
	v_add_f64 v[12:13], v[28:29], v[38:39]
	v_add_f64 v[8:9], v[26:27], v[20:21]
	v_add_f64 v[4:5], v[86:87], v[22:23]
	v_add_f64 v[60:61], v[142:143], v[148:149]
	v_add_f64 v[22:23], v[150:151], v[160:161]
	v_add_f64 v[20:21], v[210:211], v[166:167]
	v_add_f64 v[26:27], v[172:173], v[176:177]
	v_add_f64 v[24:25], v[144:145], v[132:133]
	v_add_f64 v[30:31], v[74:75], v[88:89]
	v_add_f64 v[28:29], v[90:91], v[92:93]
	v_add_f64 v[34:35], v[96:97], v[34:35]
	v_add_f64 v[32:33], v[36:37], v[72:73]
	v_add_f64 v[38:39], v[94:95], v[98:99]
	v_add_f64 v[36:37], v[68:69], v[100:101]
	ds_write_b128 v255, v[16:19]
	ds_write_b128 v255, v[12:15] offset:800
	ds_write_b128 v255, v[8:11] offset:1600
	;; [unrolled: 1-line block ×16, first 2 shown]
.LBB0_9:
	s_or_b32 exec_lo, exec_lo, s33
	s_waitcnt lgkmcnt(0)
	s_waitcnt_vscnt null, 0x0
	s_barrier
	buffer_gl0_inv
	ds_read_b128 v[0:3], v255
	ds_read_b128 v[4:7], v255 offset:1360
	ds_read_b128 v[8:11], v255 offset:2720
	;; [unrolled: 1-line block ×3, first 2 shown]
	s_clause 0x3
	buffer_load_dword v60, off, s[56:59], 0 offset:112
	buffer_load_dword v61, off, s[56:59], 0 offset:116
	;; [unrolled: 1-line block ×4, first 2 shown]
	v_mad_u64_u32 v[40:41], null, s10, v241, 0
	v_mad_u64_u32 v[42:43], null, s8, v242, 0
	s_mov_b32 s0, 0xace01346
	s_mov_b32 s1, 0x3f534679
	s_mul_i32 s3, s9, 0x550
	s_mul_hi_u32 s6, s8, 0x550
	s_mul_i32 s2, s8, 0x550
	s_add_i32 s6, s6, s3
	v_mad_u64_u32 v[52:53], null, s11, v241, v[41:42]
	v_mov_b32_e32 v41, v52
	v_lshlrev_b64 v[40:41], 4, v[40:41]
	v_add_co_u32 v40, vcc_lo, s4, v40
	v_add_co_ci_u32_e32 v41, vcc_lo, s5, v41, vcc_lo
	s_waitcnt vmcnt(0) lgkmcnt(3)
	v_mul_f64 v[44:45], v[62:63], v[2:3]
	v_mul_f64 v[46:47], v[62:63], v[0:1]
	s_clause 0x3
	buffer_load_dword v62, off, s[56:59], 0 offset:128
	buffer_load_dword v63, off, s[56:59], 0 offset:132
	;; [unrolled: 1-line block ×4, first 2 shown]
	ds_read_b128 v[16:19], v255 offset:5440
	ds_read_b128 v[20:23], v255 offset:6800
	;; [unrolled: 1-line block ×6, first 2 shown]
	s_clause 0x7
	buffer_load_dword v90, off, s[56:59], 0 offset:224
	buffer_load_dword v91, off, s[56:59], 0 offset:228
	;; [unrolled: 1-line block ×8, first 2 shown]
	v_mad_u64_u32 v[53:54], null, s9, v242, v[43:44]
	v_fma_f64 v[0:1], v[60:61], v[0:1], v[44:45]
	v_fma_f64 v[2:3], v[60:61], v[2:3], -v[46:47]
	v_mov_b32_e32 v43, v53
	v_lshlrev_b64 v[42:43], 4, v[42:43]
	v_add_co_u32 v40, vcc_lo, v40, v42
	v_add_co_ci_u32_e32 v41, vcc_lo, v41, v43, vcc_lo
	v_mul_f64 v[0:1], v[0:1], s[0:1]
	v_mul_f64 v[2:3], v[2:3], s[0:1]
	s_waitcnt vmcnt(8) lgkmcnt(8)
	v_mul_f64 v[48:49], v[64:65], v[6:7]
	v_mul_f64 v[50:51], v[64:65], v[4:5]
	s_waitcnt vmcnt(4) lgkmcnt(7)
	v_mul_f64 v[54:55], v[92:93], v[10:11]
	s_waitcnt vmcnt(0) lgkmcnt(6)
	v_mul_f64 v[58:59], v[86:87], v[14:15]
	v_mul_f64 v[44:45], v[86:87], v[12:13]
	s_clause 0xb
	buffer_load_dword v86, off, s[56:59], 0 offset:208
	buffer_load_dword v87, off, s[56:59], 0 offset:212
	;; [unrolled: 1-line block ×12, first 2 shown]
	v_mul_f64 v[56:57], v[92:93], v[8:9]
	v_fma_f64 v[4:5], v[62:63], v[4:5], v[48:49]
	v_fma_f64 v[6:7], v[62:63], v[6:7], -v[50:51]
	v_fma_f64 v[8:9], v[90:91], v[8:9], v[54:55]
	v_fma_f64 v[12:13], v[84:85], v[12:13], v[58:59]
	v_fma_f64 v[14:15], v[84:85], v[14:15], -v[44:45]
	v_add_co_u32 v44, vcc_lo, v40, s2
	v_add_co_ci_u32_e32 v45, vcc_lo, s6, v41, vcc_lo
	v_fma_f64 v[10:11], v[90:91], v[10:11], -v[56:57]
	v_mul_f64 v[4:5], v[4:5], s[0:1]
	v_mul_f64 v[6:7], v[6:7], s[0:1]
	;; [unrolled: 1-line block ×4, first 2 shown]
	s_waitcnt vmcnt(8) lgkmcnt(5)
	v_mul_f64 v[46:47], v[88:89], v[18:19]
	v_mul_f64 v[48:49], v[88:89], v[16:17]
	s_waitcnt vmcnt(0) lgkmcnt(3)
	v_mul_f64 v[62:63], v[76:77], v[26:27]
	v_mul_f64 v[64:65], v[76:77], v[24:25]
	s_clause 0x7
	buffer_load_dword v76, off, s[56:59], 0 offset:160
	buffer_load_dword v77, off, s[56:59], 0 offset:164
	;; [unrolled: 1-line block ×8, first 2 shown]
	v_mul_f64 v[50:51], v[82:83], v[22:23]
	v_mul_f64 v[60:61], v[82:83], v[20:21]
	v_fma_f64 v[16:17], v[86:87], v[16:17], v[46:47]
	v_fma_f64 v[18:19], v[86:87], v[18:19], -v[48:49]
	v_fma_f64 v[24:25], v[74:75], v[24:25], v[62:63]
	v_fma_f64 v[26:27], v[74:75], v[26:27], -v[64:65]
	v_add_co_u32 v46, vcc_lo, v44, s2
	v_fma_f64 v[20:21], v[80:81], v[20:21], v[50:51]
	v_fma_f64 v[22:23], v[80:81], v[22:23], -v[60:61]
	v_add_co_ci_u32_e32 v47, vcc_lo, s6, v45, vcc_lo
	s_waitcnt vmcnt(4) lgkmcnt(2)
	v_mul_f64 v[66:67], v[78:79], v[30:31]
	s_waitcnt vmcnt(0) lgkmcnt(1)
	v_mul_f64 v[52:53], v[94:95], v[34:35]
	v_mul_f64 v[70:71], v[94:95], v[32:33]
	s_clause 0x3
	buffer_load_dword v94, off, s[56:59], 0 offset:256
	buffer_load_dword v95, off, s[56:59], 0 offset:260
	buffer_load_dword v96, off, s[56:59], 0 offset:264
	buffer_load_dword v97, off, s[56:59], 0 offset:268
	v_mul_f64 v[68:69], v[78:79], v[28:29]
	global_store_dwordx4 v[40:41], v[0:3], off
	global_store_dwordx4 v[44:45], v[4:7], off
	v_add_co_u32 v40, vcc_lo, v46, s2
	v_add_co_ci_u32_e32 v41, vcc_lo, s6, v47, vcc_lo
	v_mul_f64 v[0:1], v[12:13], s[0:1]
	v_mul_f64 v[2:3], v[14:15], s[0:1]
	;; [unrolled: 1-line block ×8, first 2 shown]
	global_store_dwordx4 v[46:47], v[8:11], off
	v_fma_f64 v[28:29], v[76:77], v[28:29], v[66:67]
	v_fma_f64 v[32:33], v[92:93], v[32:33], v[52:53]
	v_fma_f64 v[34:35], v[92:93], v[34:35], -v[70:71]
	v_fma_f64 v[30:31], v[76:77], v[30:31], -v[68:69]
	global_store_dwordx4 v[40:41], v[0:3], off
	v_mul_f64 v[20:21], v[28:29], s[0:1]
	v_mul_f64 v[24:25], v[32:33], s[0:1]
	;; [unrolled: 1-line block ×4, first 2 shown]
	s_waitcnt vmcnt(0) lgkmcnt(0)
	v_mul_f64 v[72:73], v[96:97], v[38:39]
	v_mul_f64 v[42:43], v[96:97], v[36:37]
	v_fma_f64 v[36:37], v[94:95], v[36:37], v[72:73]
	v_fma_f64 v[38:39], v[94:95], v[38:39], -v[42:43]
	v_add_co_u32 v42, vcc_lo, v40, s2
	v_add_co_ci_u32_e32 v43, vcc_lo, s6, v41, vcc_lo
	v_add_co_u32 v44, vcc_lo, v42, s2
	v_add_co_ci_u32_e32 v45, vcc_lo, s6, v43, vcc_lo
	global_store_dwordx4 v[42:43], v[4:7], off
	v_add_co_u32 v32, vcc_lo, v44, s2
	v_add_co_ci_u32_e32 v33, vcc_lo, s6, v45, vcc_lo
	v_add_co_u32 v8, vcc_lo, v32, s2
	v_add_co_ci_u32_e32 v9, vcc_lo, s6, v33, vcc_lo
	v_mul_f64 v[28:29], v[36:37], s[0:1]
	v_mul_f64 v[30:31], v[38:39], s[0:1]
	v_add_co_u32 v0, vcc_lo, v8, s2
	v_add_co_ci_u32_e32 v1, vcc_lo, s6, v9, vcc_lo
	v_add_co_u32 v2, vcc_lo, v0, s2
	v_add_co_ci_u32_e32 v3, vcc_lo, s6, v1, vcc_lo
	global_store_dwordx4 v[44:45], v[12:15], off
	global_store_dwordx4 v[32:33], v[16:19], off
	;; [unrolled: 1-line block ×5, first 2 shown]
.LBB0_10:
	s_endpgm
	.section	.rodata,"a",@progbits
	.p2align	6, 0x0
	.amdhsa_kernel bluestein_single_back_len850_dim1_dp_op_CI_CI
		.amdhsa_group_segment_fixed_size 13600
		.amdhsa_private_segment_fixed_size 1132
		.amdhsa_kernarg_size 104
		.amdhsa_user_sgpr_count 6
		.amdhsa_user_sgpr_private_segment_buffer 1
		.amdhsa_user_sgpr_dispatch_ptr 0
		.amdhsa_user_sgpr_queue_ptr 0
		.amdhsa_user_sgpr_kernarg_segment_ptr 1
		.amdhsa_user_sgpr_dispatch_id 0
		.amdhsa_user_sgpr_flat_scratch_init 0
		.amdhsa_user_sgpr_private_segment_size 0
		.amdhsa_wavefront_size32 1
		.amdhsa_uses_dynamic_stack 0
		.amdhsa_system_sgpr_private_segment_wavefront_offset 1
		.amdhsa_system_sgpr_workgroup_id_x 1
		.amdhsa_system_sgpr_workgroup_id_y 0
		.amdhsa_system_sgpr_workgroup_id_z 0
		.amdhsa_system_sgpr_workgroup_info 0
		.amdhsa_system_vgpr_workitem_id 0
		.amdhsa_next_free_vgpr 256
		.amdhsa_next_free_sgpr 60
		.amdhsa_reserve_vcc 1
		.amdhsa_reserve_flat_scratch 0
		.amdhsa_float_round_mode_32 0
		.amdhsa_float_round_mode_16_64 0
		.amdhsa_float_denorm_mode_32 3
		.amdhsa_float_denorm_mode_16_64 3
		.amdhsa_dx10_clamp 1
		.amdhsa_ieee_mode 1
		.amdhsa_fp16_overflow 0
		.amdhsa_workgroup_processor_mode 1
		.amdhsa_memory_ordered 1
		.amdhsa_forward_progress 0
		.amdhsa_shared_vgpr_count 0
		.amdhsa_exception_fp_ieee_invalid_op 0
		.amdhsa_exception_fp_denorm_src 0
		.amdhsa_exception_fp_ieee_div_zero 0
		.amdhsa_exception_fp_ieee_overflow 0
		.amdhsa_exception_fp_ieee_underflow 0
		.amdhsa_exception_fp_ieee_inexact 0
		.amdhsa_exception_int_div_zero 0
	.end_amdhsa_kernel
	.text
.Lfunc_end0:
	.size	bluestein_single_back_len850_dim1_dp_op_CI_CI, .Lfunc_end0-bluestein_single_back_len850_dim1_dp_op_CI_CI
                                        ; -- End function
	.section	.AMDGPU.csdata,"",@progbits
; Kernel info:
; codeLenInByte = 29216
; NumSgprs: 62
; NumVgprs: 256
; ScratchSize: 1132
; MemoryBound: 0
; FloatMode: 240
; IeeeMode: 1
; LDSByteSize: 13600 bytes/workgroup (compile time only)
; SGPRBlocks: 7
; VGPRBlocks: 31
; NumSGPRsForWavesPerEU: 62
; NumVGPRsForWavesPerEU: 256
; Occupancy: 4
; WaveLimiterHint : 1
; COMPUTE_PGM_RSRC2:SCRATCH_EN: 1
; COMPUTE_PGM_RSRC2:USER_SGPR: 6
; COMPUTE_PGM_RSRC2:TRAP_HANDLER: 0
; COMPUTE_PGM_RSRC2:TGID_X_EN: 1
; COMPUTE_PGM_RSRC2:TGID_Y_EN: 0
; COMPUTE_PGM_RSRC2:TGID_Z_EN: 0
; COMPUTE_PGM_RSRC2:TIDIG_COMP_CNT: 0
	.text
	.p2alignl 6, 3214868480
	.fill 48, 4, 3214868480
	.type	__hip_cuid_75d121e213c5fc30,@object ; @__hip_cuid_75d121e213c5fc30
	.section	.bss,"aw",@nobits
	.globl	__hip_cuid_75d121e213c5fc30
__hip_cuid_75d121e213c5fc30:
	.byte	0                               ; 0x0
	.size	__hip_cuid_75d121e213c5fc30, 1

	.ident	"AMD clang version 19.0.0git (https://github.com/RadeonOpenCompute/llvm-project roc-6.4.0 25133 c7fe45cf4b819c5991fe208aaa96edf142730f1d)"
	.section	".note.GNU-stack","",@progbits
	.addrsig
	.addrsig_sym __hip_cuid_75d121e213c5fc30
	.amdgpu_metadata
---
amdhsa.kernels:
  - .args:
      - .actual_access:  read_only
        .address_space:  global
        .offset:         0
        .size:           8
        .value_kind:     global_buffer
      - .actual_access:  read_only
        .address_space:  global
        .offset:         8
        .size:           8
        .value_kind:     global_buffer
      - .actual_access:  read_only
        .address_space:  global
        .offset:         16
        .size:           8
        .value_kind:     global_buffer
      - .actual_access:  read_only
        .address_space:  global
        .offset:         24
        .size:           8
        .value_kind:     global_buffer
      - .actual_access:  read_only
        .address_space:  global
        .offset:         32
        .size:           8
        .value_kind:     global_buffer
      - .offset:         40
        .size:           8
        .value_kind:     by_value
      - .address_space:  global
        .offset:         48
        .size:           8
        .value_kind:     global_buffer
      - .address_space:  global
        .offset:         56
        .size:           8
        .value_kind:     global_buffer
      - .address_space:  global
        .offset:         64
        .size:           8
        .value_kind:     global_buffer
      - .address_space:  global
        .offset:         72
        .size:           8
        .value_kind:     global_buffer
      - .offset:         80
        .size:           4
        .value_kind:     by_value
      - .address_space:  global
        .offset:         88
        .size:           8
        .value_kind:     global_buffer
      - .address_space:  global
        .offset:         96
        .size:           8
        .value_kind:     global_buffer
    .group_segment_fixed_size: 13600
    .kernarg_segment_align: 8
    .kernarg_segment_size: 104
    .language:       OpenCL C
    .language_version:
      - 2
      - 0
    .max_flat_workgroup_size: 85
    .name:           bluestein_single_back_len850_dim1_dp_op_CI_CI
    .private_segment_fixed_size: 1132
    .sgpr_count:     62
    .sgpr_spill_count: 0
    .symbol:         bluestein_single_back_len850_dim1_dp_op_CI_CI.kd
    .uniform_work_group_size: 1
    .uses_dynamic_stack: false
    .vgpr_count:     256
    .vgpr_spill_count: 318
    .wavefront_size: 32
    .workgroup_processor_mode: 1
amdhsa.target:   amdgcn-amd-amdhsa--gfx1030
amdhsa.version:
  - 1
  - 2
...

	.end_amdgpu_metadata
